;; amdgpu-corpus repo=zjin-lcf/HeCBench kind=compiled arch=gfx1201 opt=O3
	.amdgcn_target "amdgcn-amd-amdhsa--gfx1201"
	.amdhsa_code_object_version 6
	.section	.text._Z20BlockPrefixSumKernelILi1024ELi1ELN6hipcub16HIPCUB_304000_NS18BlockScanAlgorithmE1EEvPKiPi,"axG",@progbits,_Z20BlockPrefixSumKernelILi1024ELi1ELN6hipcub16HIPCUB_304000_NS18BlockScanAlgorithmE1EEvPKiPi,comdat
	.protected	_Z20BlockPrefixSumKernelILi1024ELi1ELN6hipcub16HIPCUB_304000_NS18BlockScanAlgorithmE1EEvPKiPi ; -- Begin function _Z20BlockPrefixSumKernelILi1024ELi1ELN6hipcub16HIPCUB_304000_NS18BlockScanAlgorithmE1EEvPKiPi
	.globl	_Z20BlockPrefixSumKernelILi1024ELi1ELN6hipcub16HIPCUB_304000_NS18BlockScanAlgorithmE1EEvPKiPi
	.p2align	8
	.type	_Z20BlockPrefixSumKernelILi1024ELi1ELN6hipcub16HIPCUB_304000_NS18BlockScanAlgorithmE1EEvPKiPi,@function
_Z20BlockPrefixSumKernelILi1024ELi1ELN6hipcub16HIPCUB_304000_NS18BlockScanAlgorithmE1EEvPKiPi: ; @_Z20BlockPrefixSumKernelILi1024ELi1ELN6hipcub16HIPCUB_304000_NS18BlockScanAlgorithmE1EEvPKiPi
; %bb.0:
	s_load_b128 s[0:3], s[0:1], 0x0
	v_mbcnt_lo_u32_b32 v5, -1, 0
	v_and_b32_e32 v2, 0x3e0, v0
	s_delay_alu instid0(VALU_DEP_2) | instskip(NEXT) | instid1(VALU_DEP_2)
	v_lshlrev_b32_e32 v1, 2, v5
	v_lshlrev_b32_e32 v2, 2, v2
	s_wait_kmcnt 0x0
	s_delay_alu instid0(VALU_DEP_2) | instskip(SKIP_4) | instid1(VALU_DEP_1)
	v_add_co_u32 v3, s0, s0, v1
	s_wait_alu 0xf1ff
	v_add_co_ci_u32_e64 v4, null, s1, 0, s0
	s_mov_b32 s0, exec_lo
	v_add_co_u32 v3, vcc_lo, v3, v2
	v_add_co_ci_u32_e64 v4, null, 0, v4, vcc_lo
	global_load_b32 v4, v[3:4], off
	v_or_b32_e32 v3, v1, v2
	s_wait_loadcnt 0x0
	ds_store_b32 v3, v4
	; wave barrier
	ds_load_b32 v6, v3
	v_lshrrev_b32_e32 v4, 3, v0
	s_wait_dscnt 0x0
	s_barrier_signal -1
	s_barrier_wait -1
	global_inv scope:SCOPE_SE
	v_dual_mov_b32 v4, 0 :: v_dual_and_b32 v7, 0x7c, v4
	s_delay_alu instid0(VALU_DEP_1)
	v_lshl_add_u32 v7, v0, 2, v7
	ds_store_b32 v7, v6
	s_wait_loadcnt_dscnt 0x0
	s_barrier_signal -1
	s_barrier_wait -1
	global_inv scope:SCOPE_SE
	v_cmpx_gt_u32_e32 32, v0
	s_cbranch_execz .LBB0_2
; %bb.1:
	v_mul_u32_u24_e32 v19, 0x84, v0
	ds_load_2addr_b32 v[7:8], v19 offset1:1
	ds_load_2addr_b32 v[9:10], v19 offset0:2 offset1:3
	ds_load_2addr_b32 v[11:12], v19 offset0:4 offset1:5
	;; [unrolled: 1-line block ×5, first 2 shown]
	s_wait_dscnt 0x5
	v_add_nc_u32_e32 v8, v8, v7
	s_wait_dscnt 0x4
	s_delay_alu instid0(VALU_DEP_1) | instskip(SKIP_1) | instid1(VALU_DEP_1)
	v_add3_u32 v8, v8, v9, v10
	s_wait_dscnt 0x3
	v_add3_u32 v10, v8, v11, v12
	ds_load_2addr_b32 v[8:9], v19 offset0:12 offset1:13
	s_wait_dscnt 0x3
	v_add3_u32 v12, v10, v13, v14
	ds_load_2addr_b32 v[10:11], v19 offset0:14 offset1:15
	;; [unrolled: 3-line block ×4, first 2 shown]
	ds_load_2addr_b32 v[16:17], v19 offset0:20 offset1:21
	s_wait_dscnt 0x4
	v_add3_u32 v8, v18, v8, v9
	s_wait_dscnt 0x3
	s_delay_alu instid0(VALU_DEP_1)
	v_add3_u32 v10, v8, v10, v11
	ds_load_2addr_b32 v[8:9], v19 offset0:22 offset1:23
	s_wait_dscnt 0x3
	v_add3_u32 v12, v10, v12, v13
	ds_load_2addr_b32 v[10:11], v19 offset0:24 offset1:25
	s_wait_dscnt 0x3
	;; [unrolled: 3-line block ×3, first 2 shown]
	v_add3_u32 v18, v14, v16, v17
	ds_load_2addr_b32 v[14:15], v19 offset0:28 offset1:29
	ds_load_2addr_b32 v[16:17], v19 offset0:30 offset1:31
	; wave barrier
	s_wait_dscnt 0x4
	v_add3_u32 v8, v18, v8, v9
	s_wait_dscnt 0x3
	s_delay_alu instid0(VALU_DEP_1) | instskip(SKIP_2) | instid1(VALU_DEP_2)
	v_add3_u32 v8, v8, v10, v11
	v_bfe_i32 v11, v5, 4, 1
	s_wait_dscnt 0x2
	v_add3_u32 v8, v8, v12, v13
	s_wait_dscnt 0x1
	s_delay_alu instid0(VALU_DEP_1) | instskip(SKIP_1) | instid1(VALU_DEP_1)
	v_add3_u32 v8, v8, v14, v15
	s_wait_dscnt 0x0
	v_add3_u32 v8, v8, v16, v17
	s_delay_alu instid0(VALU_DEP_1) | instskip(SKIP_1) | instid1(VALU_DEP_1)
	v_mov_b32_dpp v10, v8 row_shr:1 row_mask:0xf bank_mask:0xf
	v_and_b32_e32 v9, 15, v5
	v_cmp_ne_u32_e32 vcc_lo, 0, v9
	s_wait_alu 0xfffd
	s_delay_alu instid0(VALU_DEP_3) | instskip(SKIP_1) | instid1(VALU_DEP_2)
	v_cndmask_b32_e32 v10, 0, v10, vcc_lo
	v_cmp_lt_u32_e32 vcc_lo, 1, v9
	v_add_nc_u32_e32 v8, v10, v8
	s_delay_alu instid0(VALU_DEP_1) | instskip(SKIP_1) | instid1(VALU_DEP_1)
	v_mov_b32_dpp v10, v8 row_shr:2 row_mask:0xf bank_mask:0xf
	s_wait_alu 0xfffd
	v_cndmask_b32_e32 v10, 0, v10, vcc_lo
	v_cmp_lt_u32_e32 vcc_lo, 3, v9
	s_delay_alu instid0(VALU_DEP_2) | instskip(NEXT) | instid1(VALU_DEP_1)
	v_add_nc_u32_e32 v8, v8, v10
	v_mov_b32_dpp v10, v8 row_shr:4 row_mask:0xf bank_mask:0xf
	s_wait_alu 0xfffd
	s_delay_alu instid0(VALU_DEP_1) | instskip(SKIP_1) | instid1(VALU_DEP_2)
	v_cndmask_b32_e32 v10, 0, v10, vcc_lo
	v_cmp_lt_u32_e32 vcc_lo, 7, v9
	v_add_nc_u32_e32 v8, v8, v10
	s_delay_alu instid0(VALU_DEP_1) | instskip(SKIP_1) | instid1(VALU_DEP_1)
	v_mov_b32_dpp v10, v8 row_shr:8 row_mask:0xf bank_mask:0xf
	s_wait_alu 0xfffd
	v_dual_cndmask_b32 v9, 0, v10 :: v_dual_add_nc_u32 v10, -1, v5
	s_delay_alu instid0(VALU_DEP_1) | instskip(NEXT) | instid1(VALU_DEP_2)
	v_add_nc_u32_e32 v8, v8, v9
	v_cmp_gt_i32_e32 vcc_lo, 0, v10
	ds_swizzle_b32 v9, v8 offset:swizzle(BROADCAST,32,15)
	s_wait_alu 0xfffd
	v_cndmask_b32_e32 v5, v10, v5, vcc_lo
	v_cmp_eq_u32_e32 vcc_lo, 0, v0
	s_delay_alu instid0(VALU_DEP_2) | instskip(SKIP_2) | instid1(VALU_DEP_1)
	v_lshlrev_b32_e32 v5, 2, v5
	s_wait_dscnt 0x0
	v_and_b32_e32 v9, v11, v9
	v_add_nc_u32_e32 v8, v8, v9
	ds_bpermute_b32 v5, v5, v8
	s_wait_dscnt 0x0
	v_add_nc_u32_e32 v5, v5, v7
	s_wait_alu 0xfffd
	s_delay_alu instid0(VALU_DEP_1)
	v_cndmask_b32_e32 v13, v5, v6, vcc_lo
	ds_store_b32 v19, v13
	; wave barrier
	ds_load_2addr_b32 v[5:6], v19 offset0:1 offset1:2
	ds_load_2addr_b32 v[7:8], v19 offset0:3 offset1:4
	;; [unrolled: 1-line block ×4, first 2 shown]
	s_wait_dscnt 0x3
	v_add_nc_u32_e32 v13, v5, v13
	s_delay_alu instid0(VALU_DEP_1) | instskip(SKIP_3) | instid1(VALU_DEP_1)
	v_add_nc_u32_e32 v14, v6, v13
	ds_load_2addr_b32 v[5:6], v19 offset0:9 offset1:10
	s_wait_dscnt 0x3
	v_add_nc_u32_e32 v15, v7, v14
	v_add_nc_u32_e32 v16, v8, v15
	ds_load_2addr_b32 v[7:8], v19 offset0:11 offset1:12
	s_wait_dscnt 0x3
	v_add_nc_u32_e32 v17, v9, v16
	s_delay_alu instid0(VALU_DEP_1) | instskip(SKIP_1) | instid1(VALU_DEP_1)
	v_add_nc_u32_e32 v18, v10, v17
	s_wait_dscnt 0x2
	v_add_nc_u32_e32 v20, v11, v18
	s_delay_alu instid0(VALU_DEP_1) | instskip(SKIP_4) | instid1(VALU_DEP_1)
	v_add_nc_u32_e32 v21, v12, v20
	ds_load_2addr_b32 v[9:10], v19 offset0:13 offset1:14
	ds_load_2addr_b32 v[11:12], v19 offset0:15 offset1:16
	s_wait_dscnt 0x3
	v_add_nc_u32_e32 v22, v5, v21
	v_add_nc_u32_e32 v23, v6, v22
	ds_load_2addr_b32 v[5:6], v19 offset0:17 offset1:18
	s_wait_dscnt 0x3
	v_add_nc_u32_e32 v24, v7, v23
	s_delay_alu instid0(VALU_DEP_1) | instskip(SKIP_3) | instid1(VALU_DEP_1)
	v_add_nc_u32_e32 v25, v8, v24
	ds_load_2addr_b32 v[7:8], v19 offset0:19 offset1:20
	s_wait_dscnt 0x3
	v_add_nc_u32_e32 v26, v9, v25
	v_add_nc_u32_e32 v27, v10, v26
	s_wait_dscnt 0x2
	s_delay_alu instid0(VALU_DEP_1) | instskip(NEXT) | instid1(VALU_DEP_1)
	v_add_nc_u32_e32 v28, v11, v27
	v_add_nc_u32_e32 v29, v12, v28
	ds_load_2addr_b32 v[9:10], v19 offset0:21 offset1:22
	ds_load_2addr_b32 v[11:12], v19 offset0:23 offset1:24
	s_wait_dscnt 0x3
	v_add_nc_u32_e32 v30, v5, v29
	s_delay_alu instid0(VALU_DEP_1) | instskip(SKIP_3) | instid1(VALU_DEP_1)
	v_add_nc_u32_e32 v31, v6, v30
	ds_load_2addr_b32 v[5:6], v19 offset0:25 offset1:26
	s_wait_dscnt 0x3
	v_add_nc_u32_e32 v32, v7, v31
	v_add_nc_u32_e32 v33, v8, v32
	ds_load_2addr_b32 v[7:8], v19 offset0:27 offset1:28
	s_wait_dscnt 0x3
	v_add_nc_u32_e32 v34, v9, v33
	s_delay_alu instid0(VALU_DEP_1)
	v_add_nc_u32_e32 v35, v10, v34
	ds_load_2addr_b32 v[9:10], v19 offset0:29 offset1:30
	ds_load_b32 v36, v19 offset:124
	ds_store_2addr_b32 v19, v13, v14 offset0:1 offset1:2
	ds_store_2addr_b32 v19, v15, v16 offset0:3 offset1:4
	;; [unrolled: 1-line block ×8, first 2 shown]
	s_wait_dscnt 0xc
	v_add_nc_u32_e32 v11, v11, v35
	s_delay_alu instid0(VALU_DEP_1) | instskip(SKIP_1) | instid1(VALU_DEP_1)
	v_add_nc_u32_e32 v12, v12, v11
	s_wait_dscnt 0xb
	v_add_nc_u32_e32 v5, v5, v12
	s_delay_alu instid0(VALU_DEP_1) | instskip(SKIP_1) | instid1(VALU_DEP_1)
	v_add_nc_u32_e32 v6, v6, v5
	;; [unrolled: 4-line block ×4, first 2 shown]
	s_wait_dscnt 0x8
	v_add_nc_u32_e32 v13, v36, v10
	ds_store_2addr_b32 v19, v30, v31 offset0:17 offset1:18
	ds_store_2addr_b32 v19, v32, v33 offset0:19 offset1:20
	;; [unrolled: 1-line block ×7, first 2 shown]
	ds_store_b32 v19, v13 offset:124
.LBB0_2:
	s_wait_alu 0xfffe
	s_or_b32 exec_lo, exec_lo, s0
	s_delay_alu instid0(SALU_CYCLE_1)
	s_mov_b32 s1, exec_lo
	v_cmp_eq_u32_e32 vcc_lo, 0, v0
	s_wait_loadcnt_dscnt 0x0
	s_barrier_signal -1
	s_barrier_wait -1
	global_inv scope:SCOPE_SE
	v_cmpx_ne_u32_e32 0, v0
	s_cbranch_execz .LBB0_4
; %bb.3:
	v_add_nc_u32_e32 v0, -1, v0
	s_delay_alu instid0(VALU_DEP_1) | instskip(NEXT) | instid1(VALU_DEP_1)
	v_lshrrev_b32_e32 v4, 3, v0
	v_and_b32_e32 v4, 0x1ffffffc, v4
	s_delay_alu instid0(VALU_DEP_1)
	v_lshl_add_u32 v0, v0, 2, v4
	ds_load_b32 v4, v0
.LBB0_4:
	s_wait_alu 0xfffe
	s_or_b32 exec_lo, exec_lo, s1
	v_mov_b32_e32 v0, 0
	v_add_co_u32 v1, s0, s2, v1
	ds_load_b32 v5, v0 offset:4216
	s_wait_loadcnt_dscnt 0x0
	s_barrier_signal -1
	s_barrier_wait -1
	global_inv scope:SCOPE_SE
	ds_store_b32 v3, v4
	; wave barrier
	ds_load_b32 v3, v3
	s_wait_alu 0xf1ff
	v_add_co_ci_u32_e64 v4, null, s3, 0, s0
	v_add_co_u32 v1, s0, v1, v2
	s_wait_alu 0xf1ff
	s_delay_alu instid0(VALU_DEP_2)
	v_add_co_ci_u32_e64 v2, null, 0, v4, s0
	s_wait_dscnt 0x0
	global_store_b32 v[1:2], v3, off
	s_and_saveexec_b32 s0, vcc_lo
	s_cbranch_execz .LBB0_6
; %bb.5:
	global_store_b32 v0, v5, s[2:3] offset:4096
.LBB0_6:
	s_endpgm
	.section	.rodata,"a",@progbits
	.p2align	6, 0x0
	.amdhsa_kernel _Z20BlockPrefixSumKernelILi1024ELi1ELN6hipcub16HIPCUB_304000_NS18BlockScanAlgorithmE1EEvPKiPi
		.amdhsa_group_segment_fixed_size 4224
		.amdhsa_private_segment_fixed_size 0
		.amdhsa_kernarg_size 16
		.amdhsa_user_sgpr_count 2
		.amdhsa_user_sgpr_dispatch_ptr 0
		.amdhsa_user_sgpr_queue_ptr 0
		.amdhsa_user_sgpr_kernarg_segment_ptr 1
		.amdhsa_user_sgpr_dispatch_id 0
		.amdhsa_user_sgpr_private_segment_size 0
		.amdhsa_wavefront_size32 1
		.amdhsa_uses_dynamic_stack 0
		.amdhsa_enable_private_segment 0
		.amdhsa_system_sgpr_workgroup_id_x 1
		.amdhsa_system_sgpr_workgroup_id_y 0
		.amdhsa_system_sgpr_workgroup_id_z 0
		.amdhsa_system_sgpr_workgroup_info 0
		.amdhsa_system_vgpr_workitem_id 0
		.amdhsa_next_free_vgpr 37
		.amdhsa_next_free_sgpr 4
		.amdhsa_reserve_vcc 1
		.amdhsa_float_round_mode_32 0
		.amdhsa_float_round_mode_16_64 0
		.amdhsa_float_denorm_mode_32 3
		.amdhsa_float_denorm_mode_16_64 3
		.amdhsa_fp16_overflow 0
		.amdhsa_workgroup_processor_mode 1
		.amdhsa_memory_ordered 1
		.amdhsa_forward_progress 1
		.amdhsa_inst_pref_size 12
		.amdhsa_round_robin_scheduling 0
		.amdhsa_exception_fp_ieee_invalid_op 0
		.amdhsa_exception_fp_denorm_src 0
		.amdhsa_exception_fp_ieee_div_zero 0
		.amdhsa_exception_fp_ieee_overflow 0
		.amdhsa_exception_fp_ieee_underflow 0
		.amdhsa_exception_fp_ieee_inexact 0
		.amdhsa_exception_int_div_zero 0
	.end_amdhsa_kernel
	.section	.text._Z20BlockPrefixSumKernelILi1024ELi1ELN6hipcub16HIPCUB_304000_NS18BlockScanAlgorithmE1EEvPKiPi,"axG",@progbits,_Z20BlockPrefixSumKernelILi1024ELi1ELN6hipcub16HIPCUB_304000_NS18BlockScanAlgorithmE1EEvPKiPi,comdat
.Lfunc_end0:
	.size	_Z20BlockPrefixSumKernelILi1024ELi1ELN6hipcub16HIPCUB_304000_NS18BlockScanAlgorithmE1EEvPKiPi, .Lfunc_end0-_Z20BlockPrefixSumKernelILi1024ELi1ELN6hipcub16HIPCUB_304000_NS18BlockScanAlgorithmE1EEvPKiPi
                                        ; -- End function
	.set _Z20BlockPrefixSumKernelILi1024ELi1ELN6hipcub16HIPCUB_304000_NS18BlockScanAlgorithmE1EEvPKiPi.num_vgpr, 37
	.set _Z20BlockPrefixSumKernelILi1024ELi1ELN6hipcub16HIPCUB_304000_NS18BlockScanAlgorithmE1EEvPKiPi.num_agpr, 0
	.set _Z20BlockPrefixSumKernelILi1024ELi1ELN6hipcub16HIPCUB_304000_NS18BlockScanAlgorithmE1EEvPKiPi.numbered_sgpr, 4
	.set _Z20BlockPrefixSumKernelILi1024ELi1ELN6hipcub16HIPCUB_304000_NS18BlockScanAlgorithmE1EEvPKiPi.num_named_barrier, 0
	.set _Z20BlockPrefixSumKernelILi1024ELi1ELN6hipcub16HIPCUB_304000_NS18BlockScanAlgorithmE1EEvPKiPi.private_seg_size, 0
	.set _Z20BlockPrefixSumKernelILi1024ELi1ELN6hipcub16HIPCUB_304000_NS18BlockScanAlgorithmE1EEvPKiPi.uses_vcc, 1
	.set _Z20BlockPrefixSumKernelILi1024ELi1ELN6hipcub16HIPCUB_304000_NS18BlockScanAlgorithmE1EEvPKiPi.uses_flat_scratch, 0
	.set _Z20BlockPrefixSumKernelILi1024ELi1ELN6hipcub16HIPCUB_304000_NS18BlockScanAlgorithmE1EEvPKiPi.has_dyn_sized_stack, 0
	.set _Z20BlockPrefixSumKernelILi1024ELi1ELN6hipcub16HIPCUB_304000_NS18BlockScanAlgorithmE1EEvPKiPi.has_recursion, 0
	.set _Z20BlockPrefixSumKernelILi1024ELi1ELN6hipcub16HIPCUB_304000_NS18BlockScanAlgorithmE1EEvPKiPi.has_indirect_call, 0
	.section	.AMDGPU.csdata,"",@progbits
; Kernel info:
; codeLenInByte = 1496
; TotalNumSgprs: 6
; NumVgprs: 37
; ScratchSize: 0
; MemoryBound: 0
; FloatMode: 240
; IeeeMode: 1
; LDSByteSize: 4224 bytes/workgroup (compile time only)
; SGPRBlocks: 0
; VGPRBlocks: 4
; NumSGPRsForWavesPerEU: 6
; NumVGPRsForWavesPerEU: 37
; Occupancy: 16
; WaveLimiterHint : 0
; COMPUTE_PGM_RSRC2:SCRATCH_EN: 0
; COMPUTE_PGM_RSRC2:USER_SGPR: 2
; COMPUTE_PGM_RSRC2:TRAP_HANDLER: 0
; COMPUTE_PGM_RSRC2:TGID_X_EN: 1
; COMPUTE_PGM_RSRC2:TGID_Y_EN: 0
; COMPUTE_PGM_RSRC2:TGID_Z_EN: 0
; COMPUTE_PGM_RSRC2:TIDIG_COMP_CNT: 0
	.section	.text._Z20BlockPrefixSumKernelILi512ELi2ELN6hipcub16HIPCUB_304000_NS18BlockScanAlgorithmE1EEvPKiPi,"axG",@progbits,_Z20BlockPrefixSumKernelILi512ELi2ELN6hipcub16HIPCUB_304000_NS18BlockScanAlgorithmE1EEvPKiPi,comdat
	.protected	_Z20BlockPrefixSumKernelILi512ELi2ELN6hipcub16HIPCUB_304000_NS18BlockScanAlgorithmE1EEvPKiPi ; -- Begin function _Z20BlockPrefixSumKernelILi512ELi2ELN6hipcub16HIPCUB_304000_NS18BlockScanAlgorithmE1EEvPKiPi
	.globl	_Z20BlockPrefixSumKernelILi512ELi2ELN6hipcub16HIPCUB_304000_NS18BlockScanAlgorithmE1EEvPKiPi
	.p2align	8
	.type	_Z20BlockPrefixSumKernelILi512ELi2ELN6hipcub16HIPCUB_304000_NS18BlockScanAlgorithmE1EEvPKiPi,@function
_Z20BlockPrefixSumKernelILi512ELi2ELN6hipcub16HIPCUB_304000_NS18BlockScanAlgorithmE1EEvPKiPi: ; @_Z20BlockPrefixSumKernelILi512ELi2ELN6hipcub16HIPCUB_304000_NS18BlockScanAlgorithmE1EEvPKiPi
; %bb.0:
	s_load_b128 s[0:3], s[0:1], 0x0
	v_lshlrev_b32_e32 v10, 1, v0
	v_mbcnt_lo_u32_b32 v9, -1, 0
	s_delay_alu instid0(VALU_DEP_2) | instskip(NEXT) | instid1(VALU_DEP_2)
	v_and_b32_e32 v5, 0x7c0, v10
	v_lshlrev_b32_e32 v3, 2, v9
	v_and_or_b32 v7, 0x3e0, v0, v9
	s_delay_alu instid0(VALU_DEP_3) | instskip(SKIP_1) | instid1(VALU_DEP_3)
	v_lshlrev_b32_e32 v4, 2, v5
	v_or_b32_e32 v6, 32, v5
	v_lshlrev_b32_e32 v11, 1, v7
	v_bfe_u32 v7, v7, 4, 27
	s_delay_alu instid0(VALU_DEP_3) | instskip(NEXT) | instid1(VALU_DEP_2)
	v_lshrrev_b32_e32 v6, 3, v6
	v_add_lshl_u32 v7, v7, v11, 2
	s_wait_kmcnt 0x0
	v_add_co_u32 v1, s0, s0, v3
	s_wait_alu 0xf1ff
	v_add_co_ci_u32_e64 v2, null, s1, 0, s0
	s_mov_b32 s0, exec_lo
	v_add_co_u32 v1, vcc_lo, v1, v4
	s_delay_alu instid0(VALU_DEP_1)
	v_add_co_ci_u32_e64 v2, null, 0, v2, vcc_lo
	s_clause 0x1
	global_load_b32 v8, v[1:2], off
	global_load_b32 v1, v[1:2], off offset:128
	v_or_b32_e32 v2, v9, v5
	v_lshrrev_b32_e32 v5, 3, v5
	s_delay_alu instid0(VALU_DEP_2) | instskip(NEXT) | instid1(VALU_DEP_1)
	v_lshlrev_b32_e32 v2, 2, v2
	v_add_nc_u32_e32 v5, v5, v2
	v_add_nc_u32_e32 v6, v6, v2
	s_wait_loadcnt 0x1
	ds_store_b32 v5, v8
	s_wait_loadcnt 0x0
	ds_store_b32 v6, v1 offset:128
	; wave barrier
	ds_load_2addr_b32 v[1:2], v7 offset1:1
	v_lshrrev_b32_e32 v8, 3, v0
	s_wait_dscnt 0x0
	s_barrier_signal -1
	s_barrier_wait -1
	global_inv scope:SCOPE_SE
	v_dual_mov_b32 v8, 0 :: v_dual_and_b32 v11, 0x7c, v8
	s_delay_alu instid0(VALU_DEP_1)
	v_lshl_add_u32 v11, v0, 2, v11
	v_add_nc_u32_e32 v2, v2, v1
	ds_store_b32 v11, v2
	s_wait_loadcnt_dscnt 0x0
	s_barrier_signal -1
	s_barrier_wait -1
	global_inv scope:SCOPE_SE
	v_cmpx_gt_u32_e32 32, v0
	s_cbranch_execz .LBB1_2
; %bb.1:
	v_and_b32_e32 v10, 0x7fc, v10
	s_delay_alu instid0(VALU_DEP_1)
	v_lshl_add_u32 v22, v0, 6, v10
	ds_load_2addr_b32 v[10:11], v22 offset1:1
	ds_load_2addr_b32 v[12:13], v22 offset0:2 offset1:3
	ds_load_2addr_b32 v[14:15], v22 offset0:4 offset1:5
	;; [unrolled: 1-line block ×4, first 2 shown]
	s_wait_dscnt 0x4
	v_add_nc_u32_e32 v11, v11, v10
	s_wait_dscnt 0x3
	s_delay_alu instid0(VALU_DEP_1)
	v_add3_u32 v13, v11, v12, v13
	ds_load_2addr_b32 v[11:12], v22 offset0:10 offset1:11
	s_wait_dscnt 0x3
	v_add3_u32 v15, v13, v14, v15
	ds_load_2addr_b32 v[13:14], v22 offset0:12 offset1:13
	ds_load_2addr_b32 v[20:21], v22 offset0:14 offset1:15
	; wave barrier
	s_wait_dscnt 0x4
	v_add3_u32 v15, v15, v16, v17
	s_wait_dscnt 0x3
	s_delay_alu instid0(VALU_DEP_1) | instskip(SKIP_1) | instid1(VALU_DEP_1)
	v_add3_u32 v15, v15, v18, v19
	s_wait_dscnt 0x2
	v_add3_u32 v11, v15, v11, v12
	v_and_b32_e32 v12, 15, v9
	s_wait_dscnt 0x1
	s_delay_alu instid0(VALU_DEP_2) | instskip(NEXT) | instid1(VALU_DEP_2)
	v_add3_u32 v11, v11, v13, v14
	v_cmp_ne_u32_e32 vcc_lo, 0, v12
	v_bfe_i32 v14, v9, 4, 1
	s_wait_dscnt 0x0
	s_delay_alu instid0(VALU_DEP_3) | instskip(NEXT) | instid1(VALU_DEP_1)
	v_add3_u32 v11, v11, v20, v21
	v_mov_b32_dpp v13, v11 row_shr:1 row_mask:0xf bank_mask:0xf
	s_wait_alu 0xfffd
	s_delay_alu instid0(VALU_DEP_1) | instskip(SKIP_1) | instid1(VALU_DEP_2)
	v_cndmask_b32_e32 v13, 0, v13, vcc_lo
	v_cmp_lt_u32_e32 vcc_lo, 1, v12
	v_add_nc_u32_e32 v11, v13, v11
	s_delay_alu instid0(VALU_DEP_1) | instskip(SKIP_1) | instid1(VALU_DEP_1)
	v_mov_b32_dpp v13, v11 row_shr:2 row_mask:0xf bank_mask:0xf
	s_wait_alu 0xfffd
	v_cndmask_b32_e32 v13, 0, v13, vcc_lo
	v_cmp_lt_u32_e32 vcc_lo, 3, v12
	s_delay_alu instid0(VALU_DEP_2) | instskip(NEXT) | instid1(VALU_DEP_1)
	v_add_nc_u32_e32 v11, v11, v13
	v_mov_b32_dpp v13, v11 row_shr:4 row_mask:0xf bank_mask:0xf
	s_wait_alu 0xfffd
	s_delay_alu instid0(VALU_DEP_1) | instskip(SKIP_1) | instid1(VALU_DEP_2)
	v_cndmask_b32_e32 v13, 0, v13, vcc_lo
	v_cmp_lt_u32_e32 vcc_lo, 7, v12
	v_add_nc_u32_e32 v11, v11, v13
	s_delay_alu instid0(VALU_DEP_1) | instskip(SKIP_1) | instid1(VALU_DEP_1)
	v_mov_b32_dpp v13, v11 row_shr:8 row_mask:0xf bank_mask:0xf
	s_wait_alu 0xfffd
	v_cndmask_b32_e32 v12, 0, v13, vcc_lo
	v_add_nc_u32_e32 v13, -1, v9
	s_delay_alu instid0(VALU_DEP_2) | instskip(NEXT) | instid1(VALU_DEP_2)
	v_add_nc_u32_e32 v11, v11, v12
	v_cmp_gt_i32_e32 vcc_lo, 0, v13
	ds_swizzle_b32 v12, v11 offset:swizzle(BROADCAST,32,15)
	s_wait_alu 0xfffd
	v_cndmask_b32_e32 v9, v13, v9, vcc_lo
	v_cmp_eq_u32_e32 vcc_lo, 0, v0
	s_delay_alu instid0(VALU_DEP_2) | instskip(SKIP_2) | instid1(VALU_DEP_1)
	v_lshlrev_b32_e32 v9, 2, v9
	s_wait_dscnt 0x0
	v_and_b32_e32 v12, v14, v12
	v_add_nc_u32_e32 v11, v11, v12
	ds_bpermute_b32 v9, v9, v11
	s_wait_dscnt 0x0
	v_add_nc_u32_e32 v9, v9, v10
	s_wait_alu 0xfffd
	s_delay_alu instid0(VALU_DEP_1)
	v_cndmask_b32_e32 v2, v9, v2, vcc_lo
	ds_store_b32 v22, v2
	; wave barrier
	ds_load_2addr_b32 v[9:10], v22 offset0:1 offset1:2
	ds_load_2addr_b32 v[11:12], v22 offset0:3 offset1:4
	;; [unrolled: 1-line block ×4, first 2 shown]
	s_wait_dscnt 0x3
	v_add_nc_u32_e32 v2, v9, v2
	s_delay_alu instid0(VALU_DEP_1) | instskip(SKIP_3) | instid1(VALU_DEP_1)
	v_add_nc_u32_e32 v17, v10, v2
	ds_load_2addr_b32 v[9:10], v22 offset0:9 offset1:10
	s_wait_dscnt 0x3
	v_add_nc_u32_e32 v18, v11, v17
	v_add_nc_u32_e32 v19, v12, v18
	ds_load_2addr_b32 v[11:12], v22 offset0:11 offset1:12
	s_wait_dscnt 0x3
	v_add_nc_u32_e32 v20, v13, v19
	s_delay_alu instid0(VALU_DEP_1) | instskip(SKIP_4) | instid1(VALU_DEP_1)
	v_add_nc_u32_e32 v21, v14, v20
	ds_load_2addr_b32 v[13:14], v22 offset0:13 offset1:14
	ds_load_b32 v23, v22 offset:60
	s_wait_dscnt 0x4
	v_add_nc_u32_e32 v15, v15, v21
	v_add_nc_u32_e32 v16, v16, v15
	s_wait_dscnt 0x3
	s_delay_alu instid0(VALU_DEP_1) | instskip(NEXT) | instid1(VALU_DEP_1)
	v_add_nc_u32_e32 v9, v9, v16
	v_add_nc_u32_e32 v10, v10, v9
	s_wait_dscnt 0x2
	s_delay_alu instid0(VALU_DEP_1) | instskip(NEXT) | instid1(VALU_DEP_1)
	v_add_nc_u32_e32 v11, v11, v10
	v_add_nc_u32_e32 v12, v12, v11
	s_wait_dscnt 0x1
	s_delay_alu instid0(VALU_DEP_1) | instskip(NEXT) | instid1(VALU_DEP_1)
	v_add_nc_u32_e32 v13, v13, v12
	v_add_nc_u32_e32 v14, v14, v13
	s_wait_dscnt 0x0
	s_delay_alu instid0(VALU_DEP_1)
	v_add_nc_u32_e32 v23, v23, v14
	ds_store_2addr_b32 v22, v2, v17 offset0:1 offset1:2
	ds_store_2addr_b32 v22, v18, v19 offset0:3 offset1:4
	ds_store_2addr_b32 v22, v20, v21 offset0:5 offset1:6
	ds_store_2addr_b32 v22, v15, v16 offset0:7 offset1:8
	ds_store_2addr_b32 v22, v9, v10 offset0:9 offset1:10
	ds_store_2addr_b32 v22, v11, v12 offset0:11 offset1:12
	ds_store_2addr_b32 v22, v13, v14 offset0:13 offset1:14
	ds_store_b32 v22, v23 offset:60
.LBB1_2:
	s_wait_alu 0xfffe
	s_or_b32 exec_lo, exec_lo, s0
	s_delay_alu instid0(SALU_CYCLE_1)
	s_mov_b32 s1, exec_lo
	v_cmp_eq_u32_e32 vcc_lo, 0, v0
	s_wait_loadcnt_dscnt 0x0
	s_barrier_signal -1
	s_barrier_wait -1
	global_inv scope:SCOPE_SE
	v_cmpx_ne_u32_e32 0, v0
	s_cbranch_execz .LBB1_4
; %bb.3:
	v_add_nc_u32_e32 v0, -1, v0
	s_delay_alu instid0(VALU_DEP_1) | instskip(NEXT) | instid1(VALU_DEP_1)
	v_lshrrev_b32_e32 v2, 3, v0
	v_and_b32_e32 v2, 0x1ffffffc, v2
	s_delay_alu instid0(VALU_DEP_1)
	v_lshl_add_u32 v0, v0, 2, v2
	ds_load_b32 v8, v0
.LBB1_4:
	s_wait_alu 0xfffe
	s_or_b32 exec_lo, exec_lo, s1
	v_mov_b32_e32 v0, 0
	s_wait_dscnt 0x0
	v_add_nc_u32_e32 v2, v8, v1
	ds_load_b32 v1, v0 offset:2104
	s_wait_loadcnt_dscnt 0x0
	s_barrier_signal -1
	s_barrier_wait -1
	global_inv scope:SCOPE_SE
	ds_store_2addr_b32 v7, v8, v2 offset1:1
	; wave barrier
	ds_load_b32 v5, v5
	ds_load_b32 v6, v6 offset:128
	v_add_co_u32 v2, s0, s2, v3
	s_wait_alu 0xf1ff
	v_add_co_ci_u32_e64 v3, null, s3, 0, s0
	s_delay_alu instid0(VALU_DEP_2) | instskip(SKIP_1) | instid1(VALU_DEP_2)
	v_add_co_u32 v2, s0, v2, v4
	s_wait_alu 0xf1ff
	v_add_co_ci_u32_e64 v3, null, 0, v3, s0
	s_wait_dscnt 0x1
	global_store_b32 v[2:3], v5, off
	s_wait_dscnt 0x0
	global_store_b32 v[2:3], v6, off offset:128
	s_and_saveexec_b32 s0, vcc_lo
	s_cbranch_execz .LBB1_6
; %bb.5:
	global_store_b32 v0, v1, s[2:3] offset:4096
.LBB1_6:
	s_endpgm
	.section	.rodata,"a",@progbits
	.p2align	6, 0x0
	.amdhsa_kernel _Z20BlockPrefixSumKernelILi512ELi2ELN6hipcub16HIPCUB_304000_NS18BlockScanAlgorithmE1EEvPKiPi
		.amdhsa_group_segment_fixed_size 4224
		.amdhsa_private_segment_fixed_size 0
		.amdhsa_kernarg_size 16
		.amdhsa_user_sgpr_count 2
		.amdhsa_user_sgpr_dispatch_ptr 0
		.amdhsa_user_sgpr_queue_ptr 0
		.amdhsa_user_sgpr_kernarg_segment_ptr 1
		.amdhsa_user_sgpr_dispatch_id 0
		.amdhsa_user_sgpr_private_segment_size 0
		.amdhsa_wavefront_size32 1
		.amdhsa_uses_dynamic_stack 0
		.amdhsa_enable_private_segment 0
		.amdhsa_system_sgpr_workgroup_id_x 1
		.amdhsa_system_sgpr_workgroup_id_y 0
		.amdhsa_system_sgpr_workgroup_id_z 0
		.amdhsa_system_sgpr_workgroup_info 0
		.amdhsa_system_vgpr_workitem_id 0
		.amdhsa_next_free_vgpr 24
		.amdhsa_next_free_sgpr 4
		.amdhsa_reserve_vcc 1
		.amdhsa_float_round_mode_32 0
		.amdhsa_float_round_mode_16_64 0
		.amdhsa_float_denorm_mode_32 3
		.amdhsa_float_denorm_mode_16_64 3
		.amdhsa_fp16_overflow 0
		.amdhsa_workgroup_processor_mode 1
		.amdhsa_memory_ordered 1
		.amdhsa_forward_progress 1
		.amdhsa_inst_pref_size 10
		.amdhsa_round_robin_scheduling 0
		.amdhsa_exception_fp_ieee_invalid_op 0
		.amdhsa_exception_fp_denorm_src 0
		.amdhsa_exception_fp_ieee_div_zero 0
		.amdhsa_exception_fp_ieee_overflow 0
		.amdhsa_exception_fp_ieee_underflow 0
		.amdhsa_exception_fp_ieee_inexact 0
		.amdhsa_exception_int_div_zero 0
	.end_amdhsa_kernel
	.section	.text._Z20BlockPrefixSumKernelILi512ELi2ELN6hipcub16HIPCUB_304000_NS18BlockScanAlgorithmE1EEvPKiPi,"axG",@progbits,_Z20BlockPrefixSumKernelILi512ELi2ELN6hipcub16HIPCUB_304000_NS18BlockScanAlgorithmE1EEvPKiPi,comdat
.Lfunc_end1:
	.size	_Z20BlockPrefixSumKernelILi512ELi2ELN6hipcub16HIPCUB_304000_NS18BlockScanAlgorithmE1EEvPKiPi, .Lfunc_end1-_Z20BlockPrefixSumKernelILi512ELi2ELN6hipcub16HIPCUB_304000_NS18BlockScanAlgorithmE1EEvPKiPi
                                        ; -- End function
	.set _Z20BlockPrefixSumKernelILi512ELi2ELN6hipcub16HIPCUB_304000_NS18BlockScanAlgorithmE1EEvPKiPi.num_vgpr, 24
	.set _Z20BlockPrefixSumKernelILi512ELi2ELN6hipcub16HIPCUB_304000_NS18BlockScanAlgorithmE1EEvPKiPi.num_agpr, 0
	.set _Z20BlockPrefixSumKernelILi512ELi2ELN6hipcub16HIPCUB_304000_NS18BlockScanAlgorithmE1EEvPKiPi.numbered_sgpr, 4
	.set _Z20BlockPrefixSumKernelILi512ELi2ELN6hipcub16HIPCUB_304000_NS18BlockScanAlgorithmE1EEvPKiPi.num_named_barrier, 0
	.set _Z20BlockPrefixSumKernelILi512ELi2ELN6hipcub16HIPCUB_304000_NS18BlockScanAlgorithmE1EEvPKiPi.private_seg_size, 0
	.set _Z20BlockPrefixSumKernelILi512ELi2ELN6hipcub16HIPCUB_304000_NS18BlockScanAlgorithmE1EEvPKiPi.uses_vcc, 1
	.set _Z20BlockPrefixSumKernelILi512ELi2ELN6hipcub16HIPCUB_304000_NS18BlockScanAlgorithmE1EEvPKiPi.uses_flat_scratch, 0
	.set _Z20BlockPrefixSumKernelILi512ELi2ELN6hipcub16HIPCUB_304000_NS18BlockScanAlgorithmE1EEvPKiPi.has_dyn_sized_stack, 0
	.set _Z20BlockPrefixSumKernelILi512ELi2ELN6hipcub16HIPCUB_304000_NS18BlockScanAlgorithmE1EEvPKiPi.has_recursion, 0
	.set _Z20BlockPrefixSumKernelILi512ELi2ELN6hipcub16HIPCUB_304000_NS18BlockScanAlgorithmE1EEvPKiPi.has_indirect_call, 0
	.section	.AMDGPU.csdata,"",@progbits
; Kernel info:
; codeLenInByte = 1236
; TotalNumSgprs: 6
; NumVgprs: 24
; ScratchSize: 0
; MemoryBound: 0
; FloatMode: 240
; IeeeMode: 1
; LDSByteSize: 4224 bytes/workgroup (compile time only)
; SGPRBlocks: 0
; VGPRBlocks: 2
; NumSGPRsForWavesPerEU: 6
; NumVGPRsForWavesPerEU: 24
; Occupancy: 16
; WaveLimiterHint : 1
; COMPUTE_PGM_RSRC2:SCRATCH_EN: 0
; COMPUTE_PGM_RSRC2:USER_SGPR: 2
; COMPUTE_PGM_RSRC2:TRAP_HANDLER: 0
; COMPUTE_PGM_RSRC2:TGID_X_EN: 1
; COMPUTE_PGM_RSRC2:TGID_Y_EN: 0
; COMPUTE_PGM_RSRC2:TGID_Z_EN: 0
; COMPUTE_PGM_RSRC2:TIDIG_COMP_CNT: 0
	.section	.text._Z20BlockPrefixSumKernelILi256ELi4ELN6hipcub16HIPCUB_304000_NS18BlockScanAlgorithmE1EEvPKiPi,"axG",@progbits,_Z20BlockPrefixSumKernelILi256ELi4ELN6hipcub16HIPCUB_304000_NS18BlockScanAlgorithmE1EEvPKiPi,comdat
	.protected	_Z20BlockPrefixSumKernelILi256ELi4ELN6hipcub16HIPCUB_304000_NS18BlockScanAlgorithmE1EEvPKiPi ; -- Begin function _Z20BlockPrefixSumKernelILi256ELi4ELN6hipcub16HIPCUB_304000_NS18BlockScanAlgorithmE1EEvPKiPi
	.globl	_Z20BlockPrefixSumKernelILi256ELi4ELN6hipcub16HIPCUB_304000_NS18BlockScanAlgorithmE1EEvPKiPi
	.p2align	8
	.type	_Z20BlockPrefixSumKernelILi256ELi4ELN6hipcub16HIPCUB_304000_NS18BlockScanAlgorithmE1EEvPKiPi,@function
_Z20BlockPrefixSumKernelILi256ELi4ELN6hipcub16HIPCUB_304000_NS18BlockScanAlgorithmE1EEvPKiPi: ; @_Z20BlockPrefixSumKernelILi256ELi4ELN6hipcub16HIPCUB_304000_NS18BlockScanAlgorithmE1EEvPKiPi
; %bb.0:
	s_load_b128 s[0:3], s[0:1], 0x0
	v_lshlrev_b32_e32 v14, 2, v0
	v_mbcnt_lo_u32_b32 v13, -1, 0
	s_delay_alu instid0(VALU_DEP_2) | instskip(NEXT) | instid1(VALU_DEP_2)
	v_and_b32_e32 v3, 0xf80, v14
	v_lshlrev_b32_e32 v5, 2, v13
	s_delay_alu instid0(VALU_DEP_2)
	v_lshlrev_b32_e32 v6, 2, v3
	v_or_b32_e32 v7, v13, v3
	v_or_b32_e32 v8, 32, v3
	;; [unrolled: 1-line block ×4, first 2 shown]
	v_lshrrev_b32_e32 v3, 3, v3
	v_lshlrev_b32_e32 v16, 2, v7
	v_lshrrev_b32_e32 v8, 3, v8
	v_lshrrev_b32_e32 v9, 3, v9
	s_wait_kmcnt 0x0
	v_add_co_u32 v1, s0, s0, v5
	s_wait_alu 0xf1ff
	v_add_co_ci_u32_e64 v2, null, s1, 0, s0
	v_lshrrev_b32_e32 v10, 3, v10
	s_delay_alu instid0(VALU_DEP_3) | instskip(NEXT) | instid1(VALU_DEP_1)
	v_add_co_u32 v1, vcc_lo, v1, v6
	v_add_co_ci_u32_e64 v2, null, 0, v2, vcc_lo
	v_add_nc_u32_e32 v7, v3, v16
	v_add_nc_u32_e32 v8, v8, v16
	;; [unrolled: 1-line block ×3, first 2 shown]
	s_clause 0x3
	global_load_b32 v4, v[1:2], off
	global_load_b32 v12, v[1:2], off offset:128
	global_load_b32 v15, v[1:2], off offset:256
	;; [unrolled: 1-line block ×3, first 2 shown]
	v_and_or_b32 v2, 0x3e0, v0, v13
	v_add_nc_u32_e32 v10, v10, v16
	s_mov_b32 s0, exec_lo
	s_wait_loadcnt 0x3
	ds_store_b32 v7, v4
	s_wait_loadcnt 0x2
	ds_store_b32 v8, v12 offset:128
	s_wait_loadcnt 0x1
	ds_store_b32 v9, v15 offset:256
	;; [unrolled: 2-line block ×3, first 2 shown]
	v_lshlrev_b32_e32 v11, 2, v2
	v_bfe_u32 v2, v2, 3, 27
	; wave barrier
	v_lshrrev_b32_e32 v12, 3, v0
	s_delay_alu instid0(VALU_DEP_2)
	v_add_lshl_u32 v11, v2, v11, 2
	ds_load_2addr_b32 v[3:4], v11 offset1:1
	ds_load_2addr_b32 v[1:2], v11 offset0:2 offset1:3
	v_dual_mov_b32 v12, 0 :: v_dual_and_b32 v15, 0x7c, v12
	s_wait_dscnt 0x0
	s_barrier_signal -1
	s_barrier_wait -1
	s_delay_alu instid0(VALU_DEP_1) | instskip(SKIP_2) | instid1(VALU_DEP_1)
	v_add_nc_u32_e32 v14, v15, v14
	global_inv scope:SCOPE_SE
	v_add_nc_u32_e32 v16, v4, v3
	v_add3_u32 v2, v16, v1, v2
	ds_store_b32 v14, v2
	s_wait_loadcnt_dscnt 0x0
	s_barrier_signal -1
	s_barrier_wait -1
	global_inv scope:SCOPE_SE
	v_cmpx_gt_u32_e32 32, v0
	s_cbranch_execz .LBB2_2
; %bb.1:
	v_and_b32_e32 v14, 0x3fc, v0
	s_delay_alu instid0(VALU_DEP_1)
	v_lshl_add_u32 v22, v0, 5, v14
	ds_load_2addr_b32 v[14:15], v22 offset1:1
	ds_load_2addr_b32 v[16:17], v22 offset0:2 offset1:3
	ds_load_2addr_b32 v[18:19], v22 offset0:4 offset1:5
	;; [unrolled: 1-line block ×3, first 2 shown]
	; wave barrier
	s_wait_dscnt 0x3
	v_add_nc_u32_e32 v15, v15, v14
	s_wait_dscnt 0x2
	s_delay_alu instid0(VALU_DEP_1) | instskip(SKIP_2) | instid1(VALU_DEP_2)
	v_add3_u32 v15, v15, v16, v17
	v_and_b32_e32 v16, 15, v13
	s_wait_dscnt 0x1
	v_add3_u32 v15, v15, v18, v19
	s_delay_alu instid0(VALU_DEP_2) | instskip(SKIP_2) | instid1(VALU_DEP_3)
	v_cmp_ne_u32_e32 vcc_lo, 0, v16
	v_bfe_i32 v18, v13, 4, 1
	s_wait_dscnt 0x0
	v_add3_u32 v15, v15, v20, v21
	s_delay_alu instid0(VALU_DEP_1) | instskip(SKIP_1) | instid1(VALU_DEP_1)
	v_mov_b32_dpp v17, v15 row_shr:1 row_mask:0xf bank_mask:0xf
	s_wait_alu 0xfffd
	v_cndmask_b32_e32 v17, 0, v17, vcc_lo
	v_cmp_lt_u32_e32 vcc_lo, 1, v16
	s_delay_alu instid0(VALU_DEP_2) | instskip(NEXT) | instid1(VALU_DEP_1)
	v_add_nc_u32_e32 v15, v17, v15
	v_mov_b32_dpp v17, v15 row_shr:2 row_mask:0xf bank_mask:0xf
	s_wait_alu 0xfffd
	s_delay_alu instid0(VALU_DEP_1) | instskip(SKIP_1) | instid1(VALU_DEP_2)
	v_cndmask_b32_e32 v17, 0, v17, vcc_lo
	v_cmp_lt_u32_e32 vcc_lo, 3, v16
	v_add_nc_u32_e32 v15, v15, v17
	s_delay_alu instid0(VALU_DEP_1) | instskip(SKIP_1) | instid1(VALU_DEP_1)
	v_mov_b32_dpp v17, v15 row_shr:4 row_mask:0xf bank_mask:0xf
	s_wait_alu 0xfffd
	v_cndmask_b32_e32 v17, 0, v17, vcc_lo
	v_cmp_lt_u32_e32 vcc_lo, 7, v16
	s_delay_alu instid0(VALU_DEP_2) | instskip(NEXT) | instid1(VALU_DEP_1)
	v_add_nc_u32_e32 v15, v15, v17
	v_mov_b32_dpp v17, v15 row_shr:8 row_mask:0xf bank_mask:0xf
	s_wait_alu 0xfffd
	s_delay_alu instid0(VALU_DEP_1) | instskip(SKIP_1) | instid1(VALU_DEP_2)
	v_cndmask_b32_e32 v16, 0, v17, vcc_lo
	v_add_nc_u32_e32 v17, -1, v13
	v_add_nc_u32_e32 v15, v15, v16
	s_delay_alu instid0(VALU_DEP_2) | instskip(SKIP_4) | instid1(VALU_DEP_2)
	v_cmp_gt_i32_e32 vcc_lo, 0, v17
	ds_swizzle_b32 v16, v15 offset:swizzle(BROADCAST,32,15)
	s_wait_alu 0xfffd
	v_cndmask_b32_e32 v13, v17, v13, vcc_lo
	v_cmp_eq_u32_e32 vcc_lo, 0, v0
	v_lshlrev_b32_e32 v13, 2, v13
	s_wait_dscnt 0x0
	v_and_b32_e32 v16, v18, v16
	s_delay_alu instid0(VALU_DEP_1) | instskip(SKIP_4) | instid1(VALU_DEP_1)
	v_add_nc_u32_e32 v15, v15, v16
	ds_bpermute_b32 v13, v13, v15
	s_wait_dscnt 0x0
	v_add_nc_u32_e32 v13, v13, v14
	s_wait_alu 0xfffd
	v_cndmask_b32_e32 v2, v13, v2, vcc_lo
	ds_store_b32 v22, v2
	; wave barrier
	ds_load_2addr_b32 v[13:14], v22 offset0:1 offset1:2
	ds_load_2addr_b32 v[15:16], v22 offset0:3 offset1:4
	;; [unrolled: 1-line block ×3, first 2 shown]
	ds_load_b32 v19, v22 offset:28
	s_wait_dscnt 0x3
	v_add_nc_u32_e32 v2, v13, v2
	s_delay_alu instid0(VALU_DEP_1) | instskip(SKIP_1) | instid1(VALU_DEP_1)
	v_add_nc_u32_e32 v13, v14, v2
	s_wait_dscnt 0x2
	v_add_nc_u32_e32 v14, v15, v13
	s_delay_alu instid0(VALU_DEP_1) | instskip(SKIP_1) | instid1(VALU_DEP_1)
	v_add_nc_u32_e32 v15, v16, v14
	;; [unrolled: 4-line block ×3, first 2 shown]
	s_wait_dscnt 0x0
	v_add_nc_u32_e32 v18, v19, v17
	ds_store_2addr_b32 v22, v2, v13 offset0:1 offset1:2
	ds_store_2addr_b32 v22, v14, v15 offset0:3 offset1:4
	;; [unrolled: 1-line block ×3, first 2 shown]
	ds_store_b32 v22, v18 offset:28
.LBB2_2:
	s_wait_alu 0xfffe
	s_or_b32 exec_lo, exec_lo, s0
	s_delay_alu instid0(SALU_CYCLE_1)
	s_mov_b32 s1, exec_lo
	v_cmp_eq_u32_e32 vcc_lo, 0, v0
	s_wait_loadcnt_dscnt 0x0
	s_barrier_signal -1
	s_barrier_wait -1
	global_inv scope:SCOPE_SE
	v_cmpx_ne_u32_e32 0, v0
	s_cbranch_execz .LBB2_4
; %bb.3:
	v_add_nc_u32_e32 v0, -1, v0
	s_delay_alu instid0(VALU_DEP_1) | instskip(NEXT) | instid1(VALU_DEP_1)
	v_lshrrev_b32_e32 v2, 3, v0
	v_and_b32_e32 v2, 0x1ffffffc, v2
	s_delay_alu instid0(VALU_DEP_1)
	v_lshl_add_u32 v0, v0, 2, v2
	ds_load_b32 v12, v0
.LBB2_4:
	s_wait_alu 0xfffe
	s_or_b32 exec_lo, exec_lo, s1
	s_wait_dscnt 0x0
	v_dual_mov_b32 v0, 0 :: v_dual_add_nc_u32 v3, v12, v3
	s_delay_alu instid0(VALU_DEP_1)
	v_add_nc_u32_e32 v4, v3, v4
	ds_load_b32 v2, v0 offset:1048
	s_wait_loadcnt_dscnt 0x0
	s_barrier_signal -1
	s_barrier_wait -1
	v_add_nc_u32_e32 v1, v4, v1
	global_inv scope:SCOPE_SE
	ds_store_2addr_b32 v11, v12, v3 offset1:1
	ds_store_2addr_b32 v11, v4, v1 offset0:2 offset1:3
	; wave barrier
	ds_load_b32 v1, v7
	ds_load_b32 v7, v8 offset:128
	ds_load_b32 v8, v9 offset:256
	;; [unrolled: 1-line block ×3, first 2 shown]
	v_add_co_u32 v3, s0, s2, v5
	s_wait_alu 0xf1ff
	v_add_co_ci_u32_e64 v4, null, s3, 0, s0
	s_delay_alu instid0(VALU_DEP_2) | instskip(SKIP_1) | instid1(VALU_DEP_2)
	v_add_co_u32 v3, s0, v3, v6
	s_wait_alu 0xf1ff
	v_add_co_ci_u32_e64 v4, null, 0, v4, s0
	s_wait_dscnt 0x3
	global_store_b32 v[3:4], v1, off
	s_wait_dscnt 0x2
	global_store_b32 v[3:4], v7, off offset:128
	s_wait_dscnt 0x1
	global_store_b32 v[3:4], v8, off offset:256
	;; [unrolled: 2-line block ×3, first 2 shown]
	s_and_saveexec_b32 s0, vcc_lo
	s_cbranch_execz .LBB2_6
; %bb.5:
	global_store_b32 v0, v2, s[2:3] offset:4096
.LBB2_6:
	s_endpgm
	.section	.rodata,"a",@progbits
	.p2align	6, 0x0
	.amdhsa_kernel _Z20BlockPrefixSumKernelILi256ELi4ELN6hipcub16HIPCUB_304000_NS18BlockScanAlgorithmE1EEvPKiPi
		.amdhsa_group_segment_fixed_size 4224
		.amdhsa_private_segment_fixed_size 0
		.amdhsa_kernarg_size 16
		.amdhsa_user_sgpr_count 2
		.amdhsa_user_sgpr_dispatch_ptr 0
		.amdhsa_user_sgpr_queue_ptr 0
		.amdhsa_user_sgpr_kernarg_segment_ptr 1
		.amdhsa_user_sgpr_dispatch_id 0
		.amdhsa_user_sgpr_private_segment_size 0
		.amdhsa_wavefront_size32 1
		.amdhsa_uses_dynamic_stack 0
		.amdhsa_enable_private_segment 0
		.amdhsa_system_sgpr_workgroup_id_x 1
		.amdhsa_system_sgpr_workgroup_id_y 0
		.amdhsa_system_sgpr_workgroup_id_z 0
		.amdhsa_system_sgpr_workgroup_info 0
		.amdhsa_system_vgpr_workitem_id 0
		.amdhsa_next_free_vgpr 23
		.amdhsa_next_free_sgpr 4
		.amdhsa_reserve_vcc 1
		.amdhsa_float_round_mode_32 0
		.amdhsa_float_round_mode_16_64 0
		.amdhsa_float_denorm_mode_32 3
		.amdhsa_float_denorm_mode_16_64 3
		.amdhsa_fp16_overflow 0
		.amdhsa_workgroup_processor_mode 1
		.amdhsa_memory_ordered 1
		.amdhsa_forward_progress 1
		.amdhsa_inst_pref_size 10
		.amdhsa_round_robin_scheduling 0
		.amdhsa_exception_fp_ieee_invalid_op 0
		.amdhsa_exception_fp_denorm_src 0
		.amdhsa_exception_fp_ieee_div_zero 0
		.amdhsa_exception_fp_ieee_overflow 0
		.amdhsa_exception_fp_ieee_underflow 0
		.amdhsa_exception_fp_ieee_inexact 0
		.amdhsa_exception_int_div_zero 0
	.end_amdhsa_kernel
	.section	.text._Z20BlockPrefixSumKernelILi256ELi4ELN6hipcub16HIPCUB_304000_NS18BlockScanAlgorithmE1EEvPKiPi,"axG",@progbits,_Z20BlockPrefixSumKernelILi256ELi4ELN6hipcub16HIPCUB_304000_NS18BlockScanAlgorithmE1EEvPKiPi,comdat
.Lfunc_end2:
	.size	_Z20BlockPrefixSumKernelILi256ELi4ELN6hipcub16HIPCUB_304000_NS18BlockScanAlgorithmE1EEvPKiPi, .Lfunc_end2-_Z20BlockPrefixSumKernelILi256ELi4ELN6hipcub16HIPCUB_304000_NS18BlockScanAlgorithmE1EEvPKiPi
                                        ; -- End function
	.set _Z20BlockPrefixSumKernelILi256ELi4ELN6hipcub16HIPCUB_304000_NS18BlockScanAlgorithmE1EEvPKiPi.num_vgpr, 23
	.set _Z20BlockPrefixSumKernelILi256ELi4ELN6hipcub16HIPCUB_304000_NS18BlockScanAlgorithmE1EEvPKiPi.num_agpr, 0
	.set _Z20BlockPrefixSumKernelILi256ELi4ELN6hipcub16HIPCUB_304000_NS18BlockScanAlgorithmE1EEvPKiPi.numbered_sgpr, 4
	.set _Z20BlockPrefixSumKernelILi256ELi4ELN6hipcub16HIPCUB_304000_NS18BlockScanAlgorithmE1EEvPKiPi.num_named_barrier, 0
	.set _Z20BlockPrefixSumKernelILi256ELi4ELN6hipcub16HIPCUB_304000_NS18BlockScanAlgorithmE1EEvPKiPi.private_seg_size, 0
	.set _Z20BlockPrefixSumKernelILi256ELi4ELN6hipcub16HIPCUB_304000_NS18BlockScanAlgorithmE1EEvPKiPi.uses_vcc, 1
	.set _Z20BlockPrefixSumKernelILi256ELi4ELN6hipcub16HIPCUB_304000_NS18BlockScanAlgorithmE1EEvPKiPi.uses_flat_scratch, 0
	.set _Z20BlockPrefixSumKernelILi256ELi4ELN6hipcub16HIPCUB_304000_NS18BlockScanAlgorithmE1EEvPKiPi.has_dyn_sized_stack, 0
	.set _Z20BlockPrefixSumKernelILi256ELi4ELN6hipcub16HIPCUB_304000_NS18BlockScanAlgorithmE1EEvPKiPi.has_recursion, 0
	.set _Z20BlockPrefixSumKernelILi256ELi4ELN6hipcub16HIPCUB_304000_NS18BlockScanAlgorithmE1EEvPKiPi.has_indirect_call, 0
	.section	.AMDGPU.csdata,"",@progbits
; Kernel info:
; codeLenInByte = 1176
; TotalNumSgprs: 6
; NumVgprs: 23
; ScratchSize: 0
; MemoryBound: 0
; FloatMode: 240
; IeeeMode: 1
; LDSByteSize: 4224 bytes/workgroup (compile time only)
; SGPRBlocks: 0
; VGPRBlocks: 2
; NumSGPRsForWavesPerEU: 6
; NumVGPRsForWavesPerEU: 23
; Occupancy: 16
; WaveLimiterHint : 1
; COMPUTE_PGM_RSRC2:SCRATCH_EN: 0
; COMPUTE_PGM_RSRC2:USER_SGPR: 2
; COMPUTE_PGM_RSRC2:TRAP_HANDLER: 0
; COMPUTE_PGM_RSRC2:TGID_X_EN: 1
; COMPUTE_PGM_RSRC2:TGID_Y_EN: 0
; COMPUTE_PGM_RSRC2:TGID_Z_EN: 0
; COMPUTE_PGM_RSRC2:TIDIG_COMP_CNT: 0
	.section	.text._Z20BlockPrefixSumKernelILi128ELi8ELN6hipcub16HIPCUB_304000_NS18BlockScanAlgorithmE1EEvPKiPi,"axG",@progbits,_Z20BlockPrefixSumKernelILi128ELi8ELN6hipcub16HIPCUB_304000_NS18BlockScanAlgorithmE1EEvPKiPi,comdat
	.protected	_Z20BlockPrefixSumKernelILi128ELi8ELN6hipcub16HIPCUB_304000_NS18BlockScanAlgorithmE1EEvPKiPi ; -- Begin function _Z20BlockPrefixSumKernelILi128ELi8ELN6hipcub16HIPCUB_304000_NS18BlockScanAlgorithmE1EEvPKiPi
	.globl	_Z20BlockPrefixSumKernelILi128ELi8ELN6hipcub16HIPCUB_304000_NS18BlockScanAlgorithmE1EEvPKiPi
	.p2align	8
	.type	_Z20BlockPrefixSumKernelILi128ELi8ELN6hipcub16HIPCUB_304000_NS18BlockScanAlgorithmE1EEvPKiPi,@function
_Z20BlockPrefixSumKernelILi128ELi8ELN6hipcub16HIPCUB_304000_NS18BlockScanAlgorithmE1EEvPKiPi: ; @_Z20BlockPrefixSumKernelILi128ELi8ELN6hipcub16HIPCUB_304000_NS18BlockScanAlgorithmE1EEvPKiPi
; %bb.0:
	s_load_b128 s[0:3], s[0:1], 0x0
	v_lshlrev_b32_e32 v1, 3, v0
	v_mbcnt_lo_u32_b32 v12, -1, 0
	s_delay_alu instid0(VALU_DEP_2) | instskip(NEXT) | instid1(VALU_DEP_2)
	v_and_b32_e32 v3, 0x1f00, v1
	v_lshlrev_b32_e32 v9, 2, v12
	s_delay_alu instid0(VALU_DEP_2)
	v_lshlrev_b32_e32 v10, 2, v3
	v_or_b32_e32 v13, v12, v3
	v_or_b32_e32 v15, 32, v3
	;; [unrolled: 1-line block ×5, first 2 shown]
	v_lshrrev_b32_e32 v14, 3, v3
	v_or_b32_e32 v19, 0xa0, v3
	v_or_b32_e32 v20, 0xc0, v3
	s_wait_kmcnt 0x0
	v_add_co_u32 v1, s0, s0, v9
	s_wait_alu 0xf1ff
	v_add_co_ci_u32_e64 v2, null, s1, 0, s0
	v_or_b32_e32 v3, 0xe0, v3
	s_delay_alu instid0(VALU_DEP_3) | instskip(NEXT) | instid1(VALU_DEP_1)
	v_add_co_u32 v1, vcc_lo, v1, v10
	v_add_co_ci_u32_e64 v2, null, 0, v2, vcc_lo
	v_lshrrev_b32_e32 v15, 3, v15
	v_lshrrev_b32_e32 v16, 3, v16
	;; [unrolled: 1-line block ×3, first 2 shown]
	s_clause 0x7
	global_load_b32 v4, v[1:2], off
	global_load_b32 v5, v[1:2], off offset:128
	global_load_b32 v6, v[1:2], off offset:256
	;; [unrolled: 1-line block ×7, first 2 shown]
	v_and_or_b32 v2, 0x3e0, v0, v12
	v_lshrrev_b32_e32 v18, 3, v18
	v_lshrrev_b32_e32 v19, 3, v19
	;; [unrolled: 1-line block ×4, first 2 shown]
	v_lshlrev_b32_e32 v11, 3, v2
	v_bfe_u32 v2, v2, 2, 27
	s_mov_b32 s0, exec_lo
	s_delay_alu instid0(VALU_DEP_1) | instskip(SKIP_1) | instid1(VALU_DEP_1)
	v_add_lshl_u32 v11, v2, v11, 2
	v_lshlrev_b32_e32 v2, 2, v13
	v_add_nc_u32_e32 v13, v14, v2
	v_add_nc_u32_e32 v14, v15, v2
	;; [unrolled: 1-line block ×8, first 2 shown]
	s_wait_loadcnt 0x7
	ds_store_b32 v13, v4
	s_wait_loadcnt 0x6
	ds_store_b32 v14, v5 offset:128
	s_wait_loadcnt 0x5
	ds_store_b32 v15, v6 offset:256
	;; [unrolled: 2-line block ×7, first 2 shown]
	; wave barrier
	ds_load_2addr_b32 v[7:8], v11 offset1:1
	ds_load_2addr_b32 v[5:6], v11 offset0:2 offset1:3
	ds_load_2addr_b32 v[3:4], v11 offset0:4 offset1:5
	;; [unrolled: 1-line block ×3, first 2 shown]
	v_lshrrev_b32_e32 v22, 3, v0
	s_wait_dscnt 0x0
	s_barrier_signal -1
	s_barrier_wait -1
	global_inv scope:SCOPE_SE
	v_and_b32_e32 v22, 0x7c, v22
	s_delay_alu instid0(VALU_DEP_1) | instskip(SKIP_1) | instid1(VALU_DEP_1)
	v_lshl_add_u32 v22, v0, 2, v22
	v_add_nc_u32_e32 v21, v8, v7
	v_add3_u32 v21, v21, v5, v6
	s_delay_alu instid0(VALU_DEP_1) | instskip(SKIP_1) | instid1(VALU_DEP_2)
	v_add3_u32 v23, v21, v3, v4
	v_mov_b32_e32 v21, 0
	v_add3_u32 v2, v23, v1, v2
	ds_store_b32 v22, v2
	s_wait_loadcnt_dscnt 0x0
	s_barrier_signal -1
	s_barrier_wait -1
	global_inv scope:SCOPE_SE
	v_cmpx_gt_u32_e32 32, v0
	s_cbranch_execz .LBB3_2
; %bb.1:
	v_lshrrev_b32_e32 v22, 1, v0
	v_bfe_i32 v27, v12, 4, 1
	s_delay_alu instid0(VALU_DEP_2) | instskip(NEXT) | instid1(VALU_DEP_1)
	v_and_b32_e32 v22, 0x1fc, v22
	v_lshl_add_u32 v26, v0, 4, v22
	ds_load_2addr_b32 v[22:23], v26 offset1:1
	ds_load_2addr_b32 v[24:25], v26 offset0:2 offset1:3
	; wave barrier
	s_wait_dscnt 0x1
	v_add_nc_u32_e32 v23, v23, v22
	s_wait_dscnt 0x0
	s_delay_alu instid0(VALU_DEP_1) | instskip(SKIP_1) | instid1(VALU_DEP_2)
	v_add3_u32 v23, v23, v24, v25
	v_and_b32_e32 v24, 15, v12
	v_mov_b32_dpp v25, v23 row_shr:1 row_mask:0xf bank_mask:0xf
	s_delay_alu instid0(VALU_DEP_2) | instskip(SKIP_1) | instid1(VALU_DEP_2)
	v_cmp_ne_u32_e32 vcc_lo, 0, v24
	s_wait_alu 0xfffd
	v_cndmask_b32_e32 v25, 0, v25, vcc_lo
	v_cmp_lt_u32_e32 vcc_lo, 1, v24
	s_delay_alu instid0(VALU_DEP_2) | instskip(NEXT) | instid1(VALU_DEP_1)
	v_add_nc_u32_e32 v23, v25, v23
	v_mov_b32_dpp v25, v23 row_shr:2 row_mask:0xf bank_mask:0xf
	s_wait_alu 0xfffd
	s_delay_alu instid0(VALU_DEP_1) | instskip(SKIP_1) | instid1(VALU_DEP_2)
	v_cndmask_b32_e32 v25, 0, v25, vcc_lo
	v_cmp_lt_u32_e32 vcc_lo, 3, v24
	v_add_nc_u32_e32 v23, v23, v25
	s_delay_alu instid0(VALU_DEP_1) | instskip(SKIP_1) | instid1(VALU_DEP_1)
	v_mov_b32_dpp v25, v23 row_shr:4 row_mask:0xf bank_mask:0xf
	s_wait_alu 0xfffd
	v_cndmask_b32_e32 v25, 0, v25, vcc_lo
	v_cmp_lt_u32_e32 vcc_lo, 7, v24
	s_delay_alu instid0(VALU_DEP_2) | instskip(NEXT) | instid1(VALU_DEP_1)
	v_add_nc_u32_e32 v23, v23, v25
	v_mov_b32_dpp v25, v23 row_shr:8 row_mask:0xf bank_mask:0xf
	s_wait_alu 0xfffd
	s_delay_alu instid0(VALU_DEP_1) | instskip(NEXT) | instid1(VALU_DEP_1)
	v_dual_cndmask_b32 v24, 0, v25 :: v_dual_add_nc_u32 v25, -1, v12
	v_add_nc_u32_e32 v23, v23, v24
	s_delay_alu instid0(VALU_DEP_2) | instskip(SKIP_4) | instid1(VALU_DEP_2)
	v_cmp_gt_i32_e32 vcc_lo, 0, v25
	ds_swizzle_b32 v24, v23 offset:swizzle(BROADCAST,32,15)
	s_wait_alu 0xfffd
	v_cndmask_b32_e32 v12, v25, v12, vcc_lo
	v_cmp_eq_u32_e32 vcc_lo, 0, v0
	v_lshlrev_b32_e32 v12, 2, v12
	s_wait_dscnt 0x0
	v_and_b32_e32 v24, v27, v24
	s_delay_alu instid0(VALU_DEP_1) | instskip(SKIP_4) | instid1(VALU_DEP_1)
	v_add_nc_u32_e32 v23, v23, v24
	ds_bpermute_b32 v12, v12, v23
	s_wait_dscnt 0x0
	v_add_nc_u32_e32 v12, v12, v22
	s_wait_alu 0xfffd
	v_cndmask_b32_e32 v2, v12, v2, vcc_lo
	ds_store_b32 v26, v2
	; wave barrier
	ds_load_2addr_b32 v[22:23], v26 offset0:1 offset1:2
	ds_load_b32 v12, v26 offset:12
	s_wait_dscnt 0x1
	v_add_nc_u32_e32 v2, v22, v2
	s_delay_alu instid0(VALU_DEP_1) | instskip(SKIP_1) | instid1(VALU_DEP_1)
	v_add_nc_u32_e32 v22, v23, v2
	s_wait_dscnt 0x0
	v_add_nc_u32_e32 v12, v12, v22
	ds_store_2addr_b32 v26, v2, v22 offset0:1 offset1:2
	ds_store_b32 v26, v12 offset:12
.LBB3_2:
	s_wait_alu 0xfffe
	s_or_b32 exec_lo, exec_lo, s0
	s_delay_alu instid0(SALU_CYCLE_1)
	s_mov_b32 s1, exec_lo
	v_cmp_eq_u32_e32 vcc_lo, 0, v0
	s_wait_loadcnt_dscnt 0x0
	s_barrier_signal -1
	s_barrier_wait -1
	global_inv scope:SCOPE_SE
	v_cmpx_ne_u32_e32 0, v0
	s_cbranch_execz .LBB3_4
; %bb.3:
	v_add_nc_u32_e32 v0, -1, v0
	s_delay_alu instid0(VALU_DEP_1) | instskip(NEXT) | instid1(VALU_DEP_1)
	v_lshrrev_b32_e32 v2, 3, v0
	v_and_b32_e32 v2, 0x1ffffffc, v2
	s_delay_alu instid0(VALU_DEP_1)
	v_lshl_add_u32 v0, v0, 2, v2
	ds_load_b32 v21, v0
.LBB3_4:
	s_wait_alu 0xfffe
	s_or_b32 exec_lo, exec_lo, s1
	s_wait_dscnt 0x0
	v_dual_mov_b32 v0, 0 :: v_dual_add_nc_u32 v7, v21, v7
	s_delay_alu instid0(VALU_DEP_1)
	v_add_nc_u32_e32 v8, v7, v8
	ds_load_b32 v2, v0 offset:520
	s_wait_loadcnt_dscnt 0x0
	s_barrier_signal -1
	s_barrier_wait -1
	v_add_nc_u32_e32 v5, v8, v5
	global_inv scope:SCOPE_SE
	v_add_nc_u32_e32 v6, v5, v6
	s_delay_alu instid0(VALU_DEP_1) | instskip(NEXT) | instid1(VALU_DEP_1)
	v_add_nc_u32_e32 v3, v6, v3
	v_add_nc_u32_e32 v4, v3, v4
	s_delay_alu instid0(VALU_DEP_1)
	v_add_nc_u32_e32 v1, v4, v1
	ds_store_2addr_b32 v11, v21, v7 offset1:1
	ds_store_2addr_b32 v11, v8, v5 offset0:2 offset1:3
	ds_store_2addr_b32 v11, v6, v3 offset0:4 offset1:5
	ds_store_2addr_b32 v11, v4, v1 offset0:6 offset1:7
	; wave barrier
	ds_load_b32 v1, v13
	ds_load_b32 v5, v14 offset:128
	ds_load_b32 v6, v15 offset:256
	;; [unrolled: 1-line block ×7, first 2 shown]
	v_add_co_u32 v3, s0, s2, v9
	s_wait_alu 0xf1ff
	v_add_co_ci_u32_e64 v4, null, s3, 0, s0
	s_delay_alu instid0(VALU_DEP_2) | instskip(SKIP_1) | instid1(VALU_DEP_2)
	v_add_co_u32 v3, s0, v3, v10
	s_wait_alu 0xf1ff
	v_add_co_ci_u32_e64 v4, null, 0, v4, s0
	s_wait_dscnt 0x7
	global_store_b32 v[3:4], v1, off
	s_wait_dscnt 0x6
	global_store_b32 v[3:4], v5, off offset:128
	s_wait_dscnt 0x5
	global_store_b32 v[3:4], v6, off offset:256
	;; [unrolled: 2-line block ×7, first 2 shown]
	s_and_saveexec_b32 s0, vcc_lo
	s_cbranch_execz .LBB3_6
; %bb.5:
	global_store_b32 v0, v2, s[2:3] offset:4096
.LBB3_6:
	s_endpgm
	.section	.rodata,"a",@progbits
	.p2align	6, 0x0
	.amdhsa_kernel _Z20BlockPrefixSumKernelILi128ELi8ELN6hipcub16HIPCUB_304000_NS18BlockScanAlgorithmE1EEvPKiPi
		.amdhsa_group_segment_fixed_size 4224
		.amdhsa_private_segment_fixed_size 0
		.amdhsa_kernarg_size 16
		.amdhsa_user_sgpr_count 2
		.amdhsa_user_sgpr_dispatch_ptr 0
		.amdhsa_user_sgpr_queue_ptr 0
		.amdhsa_user_sgpr_kernarg_segment_ptr 1
		.amdhsa_user_sgpr_dispatch_id 0
		.amdhsa_user_sgpr_private_segment_size 0
		.amdhsa_wavefront_size32 1
		.amdhsa_uses_dynamic_stack 0
		.amdhsa_enable_private_segment 0
		.amdhsa_system_sgpr_workgroup_id_x 1
		.amdhsa_system_sgpr_workgroup_id_y 0
		.amdhsa_system_sgpr_workgroup_id_z 0
		.amdhsa_system_sgpr_workgroup_info 0
		.amdhsa_system_vgpr_workitem_id 0
		.amdhsa_next_free_vgpr 28
		.amdhsa_next_free_sgpr 4
		.amdhsa_reserve_vcc 1
		.amdhsa_float_round_mode_32 0
		.amdhsa_float_round_mode_16_64 0
		.amdhsa_float_denorm_mode_32 3
		.amdhsa_float_denorm_mode_16_64 3
		.amdhsa_fp16_overflow 0
		.amdhsa_workgroup_processor_mode 1
		.amdhsa_memory_ordered 1
		.amdhsa_forward_progress 1
		.amdhsa_inst_pref_size 11
		.amdhsa_round_robin_scheduling 0
		.amdhsa_exception_fp_ieee_invalid_op 0
		.amdhsa_exception_fp_denorm_src 0
		.amdhsa_exception_fp_ieee_div_zero 0
		.amdhsa_exception_fp_ieee_overflow 0
		.amdhsa_exception_fp_ieee_underflow 0
		.amdhsa_exception_fp_ieee_inexact 0
		.amdhsa_exception_int_div_zero 0
	.end_amdhsa_kernel
	.section	.text._Z20BlockPrefixSumKernelILi128ELi8ELN6hipcub16HIPCUB_304000_NS18BlockScanAlgorithmE1EEvPKiPi,"axG",@progbits,_Z20BlockPrefixSumKernelILi128ELi8ELN6hipcub16HIPCUB_304000_NS18BlockScanAlgorithmE1EEvPKiPi,comdat
.Lfunc_end3:
	.size	_Z20BlockPrefixSumKernelILi128ELi8ELN6hipcub16HIPCUB_304000_NS18BlockScanAlgorithmE1EEvPKiPi, .Lfunc_end3-_Z20BlockPrefixSumKernelILi128ELi8ELN6hipcub16HIPCUB_304000_NS18BlockScanAlgorithmE1EEvPKiPi
                                        ; -- End function
	.set _Z20BlockPrefixSumKernelILi128ELi8ELN6hipcub16HIPCUB_304000_NS18BlockScanAlgorithmE1EEvPKiPi.num_vgpr, 28
	.set _Z20BlockPrefixSumKernelILi128ELi8ELN6hipcub16HIPCUB_304000_NS18BlockScanAlgorithmE1EEvPKiPi.num_agpr, 0
	.set _Z20BlockPrefixSumKernelILi128ELi8ELN6hipcub16HIPCUB_304000_NS18BlockScanAlgorithmE1EEvPKiPi.numbered_sgpr, 4
	.set _Z20BlockPrefixSumKernelILi128ELi8ELN6hipcub16HIPCUB_304000_NS18BlockScanAlgorithmE1EEvPKiPi.num_named_barrier, 0
	.set _Z20BlockPrefixSumKernelILi128ELi8ELN6hipcub16HIPCUB_304000_NS18BlockScanAlgorithmE1EEvPKiPi.private_seg_size, 0
	.set _Z20BlockPrefixSumKernelILi128ELi8ELN6hipcub16HIPCUB_304000_NS18BlockScanAlgorithmE1EEvPKiPi.uses_vcc, 1
	.set _Z20BlockPrefixSumKernelILi128ELi8ELN6hipcub16HIPCUB_304000_NS18BlockScanAlgorithmE1EEvPKiPi.uses_flat_scratch, 0
	.set _Z20BlockPrefixSumKernelILi128ELi8ELN6hipcub16HIPCUB_304000_NS18BlockScanAlgorithmE1EEvPKiPi.has_dyn_sized_stack, 0
	.set _Z20BlockPrefixSumKernelILi128ELi8ELN6hipcub16HIPCUB_304000_NS18BlockScanAlgorithmE1EEvPKiPi.has_recursion, 0
	.set _Z20BlockPrefixSumKernelILi128ELi8ELN6hipcub16HIPCUB_304000_NS18BlockScanAlgorithmE1EEvPKiPi.has_indirect_call, 0
	.section	.AMDGPU.csdata,"",@progbits
; Kernel info:
; codeLenInByte = 1408
; TotalNumSgprs: 6
; NumVgprs: 28
; ScratchSize: 0
; MemoryBound: 0
; FloatMode: 240
; IeeeMode: 1
; LDSByteSize: 4224 bytes/workgroup (compile time only)
; SGPRBlocks: 0
; VGPRBlocks: 3
; NumSGPRsForWavesPerEU: 6
; NumVGPRsForWavesPerEU: 28
; Occupancy: 16
; WaveLimiterHint : 1
; COMPUTE_PGM_RSRC2:SCRATCH_EN: 0
; COMPUTE_PGM_RSRC2:USER_SGPR: 2
; COMPUTE_PGM_RSRC2:TRAP_HANDLER: 0
; COMPUTE_PGM_RSRC2:TGID_X_EN: 1
; COMPUTE_PGM_RSRC2:TGID_Y_EN: 0
; COMPUTE_PGM_RSRC2:TGID_Z_EN: 0
; COMPUTE_PGM_RSRC2:TIDIG_COMP_CNT: 0
	.section	.text._Z20BlockPrefixSumKernelILi64ELi16ELN6hipcub16HIPCUB_304000_NS18BlockScanAlgorithmE1EEvPKiPi,"axG",@progbits,_Z20BlockPrefixSumKernelILi64ELi16ELN6hipcub16HIPCUB_304000_NS18BlockScanAlgorithmE1EEvPKiPi,comdat
	.protected	_Z20BlockPrefixSumKernelILi64ELi16ELN6hipcub16HIPCUB_304000_NS18BlockScanAlgorithmE1EEvPKiPi ; -- Begin function _Z20BlockPrefixSumKernelILi64ELi16ELN6hipcub16HIPCUB_304000_NS18BlockScanAlgorithmE1EEvPKiPi
	.globl	_Z20BlockPrefixSumKernelILi64ELi16ELN6hipcub16HIPCUB_304000_NS18BlockScanAlgorithmE1EEvPKiPi
	.p2align	8
	.type	_Z20BlockPrefixSumKernelILi64ELi16ELN6hipcub16HIPCUB_304000_NS18BlockScanAlgorithmE1EEvPKiPi,@function
_Z20BlockPrefixSumKernelILi64ELi16ELN6hipcub16HIPCUB_304000_NS18BlockScanAlgorithmE1EEvPKiPi: ; @_Z20BlockPrefixSumKernelILi64ELi16ELN6hipcub16HIPCUB_304000_NS18BlockScanAlgorithmE1EEvPKiPi
; %bb.0:
	s_load_b128 s[0:3], s[0:1], 0x0
	v_lshlrev_b32_e32 v1, 4, v0
	v_mbcnt_lo_u32_b32 v19, -1, 0
	s_delay_alu instid0(VALU_DEP_2) | instskip(NEXT) | instid1(VALU_DEP_2)
	v_and_b32_e32 v3, 0x3e00, v1
	v_lshlrev_b32_e32 v18, 2, v19
	s_delay_alu instid0(VALU_DEP_2)
	v_lshlrev_b32_e32 v17, 2, v3
	v_or_b32_e32 v21, v19, v3
	v_or_b32_e32 v23, 32, v3
	;; [unrolled: 1-line block ×5, first 2 shown]
	v_lshrrev_b32_e32 v22, 3, v3
	v_or_b32_e32 v27, 0xa0, v3
	v_or_b32_e32 v28, 0xc0, v3
	s_wait_kmcnt 0x0
	v_add_co_u32 v1, s0, s0, v18
	s_wait_alu 0xf1ff
	v_add_co_ci_u32_e64 v2, null, s1, 0, s0
	v_or_b32_e32 v29, 0xe0, v3
	s_delay_alu instid0(VALU_DEP_3) | instskip(NEXT) | instid1(VALU_DEP_1)
	v_add_co_u32 v1, vcc_lo, v1, v17
	v_add_co_ci_u32_e64 v2, null, 0, v2, vcc_lo
	v_or_b32_e32 v30, 0x100, v3
	v_or_b32_e32 v31, 0x120, v3
	;; [unrolled: 1-line block ×3, first 2 shown]
	s_clause 0xf
	global_load_b32 v4, v[1:2], off
	global_load_b32 v5, v[1:2], off offset:128
	global_load_b32 v6, v[1:2], off offset:256
	;; [unrolled: 1-line block ×15, first 2 shown]
	v_and_or_b32 v2, 0x3e0, v0, v19
	v_or_b32_e32 v33, 0x160, v3
	v_or_b32_e32 v34, 0x180, v3
	;; [unrolled: 1-line block ×4, first 2 shown]
	v_lshlrev_b32_e32 v20, 4, v2
	v_bfe_u32 v2, v2, 1, 27
	v_or_b32_e32 v3, 0x1e0, v3
	v_lshrrev_b32_e32 v23, 3, v23
	v_lshrrev_b32_e32 v24, 3, v24
	;; [unrolled: 1-line block ×3, first 2 shown]
	v_add_lshl_u32 v20, v2, v20, 2
	v_lshlrev_b32_e32 v2, 2, v21
	v_lshrrev_b32_e32 v26, 3, v26
	v_lshrrev_b32_e32 v27, 3, v27
	;; [unrolled: 1-line block ×12, first 2 shown]
	v_add_nc_u32_e32 v21, v22, v2
	v_add_nc_u32_e32 v22, v23, v2
	v_add_nc_u32_e32 v23, v24, v2
	v_add_nc_u32_e32 v24, v25, v2
	v_add_nc_u32_e32 v25, v26, v2
	v_add_nc_u32_e32 v26, v27, v2
	v_add_nc_u32_e32 v27, v28, v2
	v_add_nc_u32_e32 v28, v29, v2
	v_add_nc_u32_e32 v29, v30, v2
	v_add_nc_u32_e32 v30, v31, v2
	v_add_nc_u32_e32 v31, v32, v2
	v_add_nc_u32_e32 v32, v33, v2
	v_add_nc_u32_e32 v33, v34, v2
	v_add_nc_u32_e32 v34, v35, v2
	v_add_nc_u32_e32 v35, v36, v2
	v_add_nc_u32_e32 v36, v3, v2
	s_mov_b32 s0, exec_lo
	s_wait_loadcnt 0xf
	ds_store_b32 v21, v4
	s_wait_loadcnt 0xe
	ds_store_b32 v22, v5 offset:128
	s_wait_loadcnt 0xd
	ds_store_b32 v23, v6 offset:256
	;; [unrolled: 2-line block ×15, first 2 shown]
	; wave barrier
	ds_load_2addr_b32 v[11:12], v20 offset1:1
	ds_load_2addr_b32 v[9:10], v20 offset0:2 offset1:3
	ds_load_2addr_b32 v[7:8], v20 offset0:4 offset1:5
	;; [unrolled: 1-line block ×5, first 2 shown]
	v_lshrrev_b32_e32 v38, 3, v0
	s_delay_alu instid0(VALU_DEP_1) | instskip(NEXT) | instid1(VALU_DEP_1)
	v_and_b32_e32 v38, 0x7c, v38
	v_lshl_add_u32 v38, v0, 2, v38
	s_wait_dscnt 0x5
	v_add_nc_u32_e32 v1, v12, v11
	s_wait_dscnt 0x4
	s_delay_alu instid0(VALU_DEP_1) | instskip(SKIP_1) | instid1(VALU_DEP_1)
	v_add3_u32 v1, v1, v9, v10
	s_wait_dscnt 0x3
	v_add3_u32 v37, v1, v7, v8
	ds_load_2addr_b32 v[3:4], v20 offset0:12 offset1:13
	ds_load_2addr_b32 v[1:2], v20 offset0:14 offset1:15
	s_wait_dscnt 0x0
	s_barrier_signal -1
	s_barrier_wait -1
	v_add3_u32 v37, v37, v5, v6
	global_inv scope:SCOPE_SE
	v_add3_u32 v37, v37, v13, v14
	s_delay_alu instid0(VALU_DEP_1) | instskip(NEXT) | instid1(VALU_DEP_1)
	v_add3_u32 v37, v37, v15, v16
	v_add3_u32 v39, v37, v3, v4
	v_mov_b32_e32 v37, 0
	s_delay_alu instid0(VALU_DEP_2)
	v_add3_u32 v2, v39, v1, v2
	ds_store_b32 v38, v2
	s_wait_loadcnt_dscnt 0x0
	s_barrier_signal -1
	s_barrier_wait -1
	global_inv scope:SCOPE_SE
	v_cmpx_gt_u32_e32 32, v0
	s_cbranch_execz .LBB4_2
; %bb.1:
	v_lshrrev_b32_e32 v38, 2, v0
	v_bfe_i32 v43, v19, 4, 1
	s_delay_alu instid0(VALU_DEP_2) | instskip(NEXT) | instid1(VALU_DEP_1)
	v_and_b32_e32 v38, 0xfc, v38
	v_lshl_add_u32 v40, v0, 3, v38
	ds_load_2addr_b32 v[38:39], v40 offset1:1
	; wave barrier
	s_wait_dscnt 0x0
	v_add_nc_u32_e32 v39, v39, v38
	s_delay_alu instid0(VALU_DEP_1) | instskip(SKIP_1) | instid1(VALU_DEP_1)
	v_mov_b32_dpp v42, v39 row_shr:1 row_mask:0xf bank_mask:0xf
	v_and_b32_e32 v41, 15, v19
	v_cmp_ne_u32_e32 vcc_lo, 0, v41
	s_wait_alu 0xfffd
	s_delay_alu instid0(VALU_DEP_3) | instskip(SKIP_1) | instid1(VALU_DEP_2)
	v_cndmask_b32_e32 v42, 0, v42, vcc_lo
	v_cmp_lt_u32_e32 vcc_lo, 1, v41
	v_add_nc_u32_e32 v39, v42, v39
	s_delay_alu instid0(VALU_DEP_1) | instskip(SKIP_1) | instid1(VALU_DEP_1)
	v_mov_b32_dpp v42, v39 row_shr:2 row_mask:0xf bank_mask:0xf
	s_wait_alu 0xfffd
	v_cndmask_b32_e32 v42, 0, v42, vcc_lo
	v_cmp_lt_u32_e32 vcc_lo, 3, v41
	s_delay_alu instid0(VALU_DEP_2) | instskip(NEXT) | instid1(VALU_DEP_1)
	v_add_nc_u32_e32 v39, v39, v42
	v_mov_b32_dpp v42, v39 row_shr:4 row_mask:0xf bank_mask:0xf
	s_wait_alu 0xfffd
	s_delay_alu instid0(VALU_DEP_1) | instskip(SKIP_1) | instid1(VALU_DEP_2)
	v_cndmask_b32_e32 v42, 0, v42, vcc_lo
	v_cmp_lt_u32_e32 vcc_lo, 7, v41
	v_add_nc_u32_e32 v39, v39, v42
	s_delay_alu instid0(VALU_DEP_1) | instskip(SKIP_1) | instid1(VALU_DEP_1)
	v_mov_b32_dpp v42, v39 row_shr:8 row_mask:0xf bank_mask:0xf
	s_wait_alu 0xfffd
	v_dual_cndmask_b32 v41, 0, v42 :: v_dual_add_nc_u32 v42, -1, v19
	s_delay_alu instid0(VALU_DEP_1) | instskip(NEXT) | instid1(VALU_DEP_2)
	v_add_nc_u32_e32 v39, v39, v41
	v_cmp_gt_i32_e32 vcc_lo, 0, v42
	ds_swizzle_b32 v41, v39 offset:swizzle(BROADCAST,32,15)
	s_wait_alu 0xfffd
	v_cndmask_b32_e32 v19, v42, v19, vcc_lo
	v_cmp_eq_u32_e32 vcc_lo, 0, v0
	s_delay_alu instid0(VALU_DEP_2) | instskip(SKIP_2) | instid1(VALU_DEP_1)
	v_lshlrev_b32_e32 v19, 2, v19
	s_wait_dscnt 0x0
	v_and_b32_e32 v41, v43, v41
	v_add_nc_u32_e32 v39, v39, v41
	ds_bpermute_b32 v19, v19, v39
	s_wait_dscnt 0x0
	v_add_nc_u32_e32 v19, v19, v38
	s_wait_alu 0xfffd
	s_delay_alu instid0(VALU_DEP_1)
	v_cndmask_b32_e32 v2, v19, v2, vcc_lo
	ds_store_b32 v40, v2
	; wave barrier
	ds_load_b32 v19, v40 offset:4
	s_wait_dscnt 0x0
	v_add_nc_u32_e32 v2, v19, v2
	ds_store_b32 v40, v2 offset:4
.LBB4_2:
	s_wait_alu 0xfffe
	s_or_b32 exec_lo, exec_lo, s0
	s_delay_alu instid0(SALU_CYCLE_1)
	s_mov_b32 s1, exec_lo
	v_cmp_eq_u32_e32 vcc_lo, 0, v0
	s_wait_loadcnt_dscnt 0x0
	s_barrier_signal -1
	s_barrier_wait -1
	global_inv scope:SCOPE_SE
	v_cmpx_ne_u32_e32 0, v0
	s_cbranch_execz .LBB4_4
; %bb.3:
	v_add_nc_u32_e32 v0, -1, v0
	s_delay_alu instid0(VALU_DEP_1) | instskip(NEXT) | instid1(VALU_DEP_1)
	v_lshrrev_b32_e32 v2, 3, v0
	v_and_b32_e32 v2, 0x1ffffffc, v2
	s_delay_alu instid0(VALU_DEP_1)
	v_lshl_add_u32 v0, v0, 2, v2
	ds_load_b32 v37, v0
.LBB4_4:
	s_wait_alu 0xfffe
	s_or_b32 exec_lo, exec_lo, s1
	s_wait_dscnt 0x0
	v_dual_mov_b32 v0, 0 :: v_dual_add_nc_u32 v11, v37, v11
	v_add_co_u32 v18, s0, s2, v18
	s_wait_alu 0xf1ff
	v_add_co_ci_u32_e64 v19, null, s3, 0, s0
	s_delay_alu instid0(VALU_DEP_3)
	v_add_nc_u32_e32 v12, v11, v12
	ds_load_b32 v2, v0 offset:256
	s_wait_loadcnt_dscnt 0x0
	s_barrier_signal -1
	s_barrier_wait -1
	v_add_nc_u32_e32 v9, v12, v9
	global_inv scope:SCOPE_SE
	v_add_nc_u32_e32 v10, v9, v10
	s_delay_alu instid0(VALU_DEP_1) | instskip(NEXT) | instid1(VALU_DEP_1)
	v_add_nc_u32_e32 v7, v10, v7
	v_add_nc_u32_e32 v8, v7, v8
	s_delay_alu instid0(VALU_DEP_1) | instskip(NEXT) | instid1(VALU_DEP_1)
	v_add_nc_u32_e32 v5, v8, v5
	;; [unrolled: 3-line block ×5, first 2 shown]
	v_add_nc_u32_e32 v4, v3, v4
	s_delay_alu instid0(VALU_DEP_1)
	v_add_nc_u32_e32 v1, v4, v1
	ds_store_2addr_b32 v20, v37, v11 offset1:1
	ds_store_2addr_b32 v20, v12, v9 offset0:2 offset1:3
	ds_store_2addr_b32 v20, v10, v7 offset0:4 offset1:5
	;; [unrolled: 1-line block ×7, first 2 shown]
	; wave barrier
	ds_load_b32 v1, v21
	ds_load_b32 v5, v22 offset:128
	ds_load_b32 v6, v23 offset:256
	;; [unrolled: 1-line block ×15, first 2 shown]
	v_add_co_u32 v3, s0, v18, v17
	s_wait_alu 0xf1ff
	v_add_co_ci_u32_e64 v4, null, 0, v19, s0
	s_wait_dscnt 0xf
	global_store_b32 v[3:4], v1, off
	s_wait_dscnt 0xe
	global_store_b32 v[3:4], v5, off offset:128
	s_wait_dscnt 0xd
	global_store_b32 v[3:4], v6, off offset:256
	;; [unrolled: 2-line block ×15, first 2 shown]
	s_and_saveexec_b32 s0, vcc_lo
	s_cbranch_execz .LBB4_6
; %bb.5:
	global_store_b32 v0, v2, s[2:3] offset:4096
.LBB4_6:
	s_endpgm
	.section	.rodata,"a",@progbits
	.p2align	6, 0x0
	.amdhsa_kernel _Z20BlockPrefixSumKernelILi64ELi16ELN6hipcub16HIPCUB_304000_NS18BlockScanAlgorithmE1EEvPKiPi
		.amdhsa_group_segment_fixed_size 4224
		.amdhsa_private_segment_fixed_size 0
		.amdhsa_kernarg_size 16
		.amdhsa_user_sgpr_count 2
		.amdhsa_user_sgpr_dispatch_ptr 0
		.amdhsa_user_sgpr_queue_ptr 0
		.amdhsa_user_sgpr_kernarg_segment_ptr 1
		.amdhsa_user_sgpr_dispatch_id 0
		.amdhsa_user_sgpr_private_segment_size 0
		.amdhsa_wavefront_size32 1
		.amdhsa_uses_dynamic_stack 0
		.amdhsa_enable_private_segment 0
		.amdhsa_system_sgpr_workgroup_id_x 1
		.amdhsa_system_sgpr_workgroup_id_y 0
		.amdhsa_system_sgpr_workgroup_id_z 0
		.amdhsa_system_sgpr_workgroup_info 0
		.amdhsa_system_vgpr_workitem_id 0
		.amdhsa_next_free_vgpr 44
		.amdhsa_next_free_sgpr 4
		.amdhsa_reserve_vcc 1
		.amdhsa_float_round_mode_32 0
		.amdhsa_float_round_mode_16_64 0
		.amdhsa_float_denorm_mode_32 3
		.amdhsa_float_denorm_mode_16_64 3
		.amdhsa_fp16_overflow 0
		.amdhsa_workgroup_processor_mode 1
		.amdhsa_memory_ordered 1
		.amdhsa_forward_progress 1
		.amdhsa_inst_pref_size 16
		.amdhsa_round_robin_scheduling 0
		.amdhsa_exception_fp_ieee_invalid_op 0
		.amdhsa_exception_fp_denorm_src 0
		.amdhsa_exception_fp_ieee_div_zero 0
		.amdhsa_exception_fp_ieee_overflow 0
		.amdhsa_exception_fp_ieee_underflow 0
		.amdhsa_exception_fp_ieee_inexact 0
		.amdhsa_exception_int_div_zero 0
	.end_amdhsa_kernel
	.section	.text._Z20BlockPrefixSumKernelILi64ELi16ELN6hipcub16HIPCUB_304000_NS18BlockScanAlgorithmE1EEvPKiPi,"axG",@progbits,_Z20BlockPrefixSumKernelILi64ELi16ELN6hipcub16HIPCUB_304000_NS18BlockScanAlgorithmE1EEvPKiPi,comdat
.Lfunc_end4:
	.size	_Z20BlockPrefixSumKernelILi64ELi16ELN6hipcub16HIPCUB_304000_NS18BlockScanAlgorithmE1EEvPKiPi, .Lfunc_end4-_Z20BlockPrefixSumKernelILi64ELi16ELN6hipcub16HIPCUB_304000_NS18BlockScanAlgorithmE1EEvPKiPi
                                        ; -- End function
	.set _Z20BlockPrefixSumKernelILi64ELi16ELN6hipcub16HIPCUB_304000_NS18BlockScanAlgorithmE1EEvPKiPi.num_vgpr, 44
	.set _Z20BlockPrefixSumKernelILi64ELi16ELN6hipcub16HIPCUB_304000_NS18BlockScanAlgorithmE1EEvPKiPi.num_agpr, 0
	.set _Z20BlockPrefixSumKernelILi64ELi16ELN6hipcub16HIPCUB_304000_NS18BlockScanAlgorithmE1EEvPKiPi.numbered_sgpr, 4
	.set _Z20BlockPrefixSumKernelILi64ELi16ELN6hipcub16HIPCUB_304000_NS18BlockScanAlgorithmE1EEvPKiPi.num_named_barrier, 0
	.set _Z20BlockPrefixSumKernelILi64ELi16ELN6hipcub16HIPCUB_304000_NS18BlockScanAlgorithmE1EEvPKiPi.private_seg_size, 0
	.set _Z20BlockPrefixSumKernelILi64ELi16ELN6hipcub16HIPCUB_304000_NS18BlockScanAlgorithmE1EEvPKiPi.uses_vcc, 1
	.set _Z20BlockPrefixSumKernelILi64ELi16ELN6hipcub16HIPCUB_304000_NS18BlockScanAlgorithmE1EEvPKiPi.uses_flat_scratch, 0
	.set _Z20BlockPrefixSumKernelILi64ELi16ELN6hipcub16HIPCUB_304000_NS18BlockScanAlgorithmE1EEvPKiPi.has_dyn_sized_stack, 0
	.set _Z20BlockPrefixSumKernelILi64ELi16ELN6hipcub16HIPCUB_304000_NS18BlockScanAlgorithmE1EEvPKiPi.has_recursion, 0
	.set _Z20BlockPrefixSumKernelILi64ELi16ELN6hipcub16HIPCUB_304000_NS18BlockScanAlgorithmE1EEvPKiPi.has_indirect_call, 0
	.section	.AMDGPU.csdata,"",@progbits
; Kernel info:
; codeLenInByte = 2024
; TotalNumSgprs: 6
; NumVgprs: 44
; ScratchSize: 0
; MemoryBound: 0
; FloatMode: 240
; IeeeMode: 1
; LDSByteSize: 4224 bytes/workgroup (compile time only)
; SGPRBlocks: 0
; VGPRBlocks: 5
; NumSGPRsForWavesPerEU: 6
; NumVGPRsForWavesPerEU: 44
; Occupancy: 16
; WaveLimiterHint : 1
; COMPUTE_PGM_RSRC2:SCRATCH_EN: 0
; COMPUTE_PGM_RSRC2:USER_SGPR: 2
; COMPUTE_PGM_RSRC2:TRAP_HANDLER: 0
; COMPUTE_PGM_RSRC2:TGID_X_EN: 1
; COMPUTE_PGM_RSRC2:TGID_Y_EN: 0
; COMPUTE_PGM_RSRC2:TGID_Z_EN: 0
; COMPUTE_PGM_RSRC2:TIDIG_COMP_CNT: 0
	.section	.text._Z20BlockPrefixSumKernelILi1024ELi1ELN6hipcub16HIPCUB_304000_NS18BlockScanAlgorithmE0EEvPKiPi,"axG",@progbits,_Z20BlockPrefixSumKernelILi1024ELi1ELN6hipcub16HIPCUB_304000_NS18BlockScanAlgorithmE0EEvPKiPi,comdat
	.protected	_Z20BlockPrefixSumKernelILi1024ELi1ELN6hipcub16HIPCUB_304000_NS18BlockScanAlgorithmE0EEvPKiPi ; -- Begin function _Z20BlockPrefixSumKernelILi1024ELi1ELN6hipcub16HIPCUB_304000_NS18BlockScanAlgorithmE0EEvPKiPi
	.globl	_Z20BlockPrefixSumKernelILi1024ELi1ELN6hipcub16HIPCUB_304000_NS18BlockScanAlgorithmE0EEvPKiPi
	.p2align	8
	.type	_Z20BlockPrefixSumKernelILi1024ELi1ELN6hipcub16HIPCUB_304000_NS18BlockScanAlgorithmE0EEvPKiPi,@function
_Z20BlockPrefixSumKernelILi1024ELi1ELN6hipcub16HIPCUB_304000_NS18BlockScanAlgorithmE0EEvPKiPi: ; @_Z20BlockPrefixSumKernelILi1024ELi1ELN6hipcub16HIPCUB_304000_NS18BlockScanAlgorithmE0EEvPKiPi
; %bb.0:
	s_load_b128 s[4:7], s[0:1], 0x0
	v_mbcnt_lo_u32_b32 v4, -1, 0
	v_and_b32_e32 v2, 0x3e0, v0
	v_and_b32_e32 v9, 31, v0
	s_delay_alu instid0(VALU_DEP_3) | instskip(NEXT) | instid1(VALU_DEP_3)
	v_lshlrev_b32_e32 v1, 2, v4
	v_lshlrev_b32_e32 v2, 2, v2
	v_and_b32_e32 v8, 16, v4
	s_delay_alu instid0(VALU_DEP_1) | instskip(SKIP_2) | instid1(VALU_DEP_1)
	v_cmp_eq_u32_e64 s3, 0, v8
	s_wait_kmcnt 0x0
	v_add_co_u32 v3, s0, s4, v1
	v_add_co_ci_u32_e64 v6, null, s5, 0, s0
	s_mov_b32 s5, exec_lo
	v_add_co_u32 v5, vcc_lo, v3, v2
	s_delay_alu instid0(VALU_DEP_1) | instskip(SKIP_3) | instid1(VALU_DEP_1)
	v_add_co_ci_u32_e64 v6, null, 0, v6, vcc_lo
	v_or_b32_e32 v3, v1, v2
	global_load_b32 v5, v[5:6], off
	v_and_b32_e32 v6, 15, v4
	v_cmp_eq_u32_e32 vcc_lo, 0, v6
	v_cmp_lt_u32_e64 s0, 1, v6
	v_cmp_lt_u32_e64 s1, 3, v6
	;; [unrolled: 1-line block ×3, first 2 shown]
	s_wait_loadcnt 0x0
	ds_store_b32 v3, v5
	; wave barrier
	ds_load_b32 v5, v3
	s_wait_dscnt 0x0
	s_barrier_signal -1
	s_barrier_wait -1
	global_inv scope:SCOPE_SE
	v_mov_b32_dpp v7, v5 row_shr:1 row_mask:0xf bank_mask:0xf
	s_wait_alu 0xfffd
	s_delay_alu instid0(VALU_DEP_1) | instskip(NEXT) | instid1(VALU_DEP_1)
	v_cndmask_b32_e64 v7, v7, 0, vcc_lo
	v_add_nc_u32_e32 v5, v7, v5
	s_delay_alu instid0(VALU_DEP_1) | instskip(SKIP_1) | instid1(VALU_DEP_1)
	v_mov_b32_dpp v7, v5 row_shr:2 row_mask:0xf bank_mask:0xf
	s_wait_alu 0xf1ff
	v_cndmask_b32_e64 v7, 0, v7, s0
	s_delay_alu instid0(VALU_DEP_1) | instskip(NEXT) | instid1(VALU_DEP_1)
	v_add_nc_u32_e32 v5, v5, v7
	v_mov_b32_dpp v7, v5 row_shr:4 row_mask:0xf bank_mask:0xf
	s_delay_alu instid0(VALU_DEP_1) | instskip(NEXT) | instid1(VALU_DEP_1)
	v_cndmask_b32_e64 v7, 0, v7, s1
	v_add_nc_u32_e32 v5, v5, v7
	s_delay_alu instid0(VALU_DEP_1) | instskip(NEXT) | instid1(VALU_DEP_1)
	v_mov_b32_dpp v7, v5 row_shr:8 row_mask:0xf bank_mask:0xf
	v_cndmask_b32_e64 v6, 0, v7, s2
	v_bfe_i32 v7, v4, 4, 1
	s_delay_alu instid0(VALU_DEP_2) | instskip(SKIP_4) | instid1(VALU_DEP_2)
	v_add_nc_u32_e32 v5, v5, v6
	ds_swizzle_b32 v6, v5 offset:swizzle(BROADCAST,32,15)
	s_wait_dscnt 0x0
	v_and_b32_e32 v7, v7, v6
	v_lshrrev_b32_e32 v6, 5, v0
	v_add_nc_u32_e32 v5, v5, v7
	v_cmpx_eq_u32_e32 31, v9
; %bb.1:
	s_delay_alu instid0(VALU_DEP_3)
	v_lshlrev_b32_e32 v7, 2, v6
	ds_store_b32 v7, v5
; %bb.2:
	s_wait_alu 0xfffe
	s_or_b32 exec_lo, exec_lo, s5
	v_cmp_lt_u32_e64 s4, 31, v0
	s_mov_b32 s8, exec_lo
	s_wait_loadcnt_dscnt 0x0
	s_barrier_signal -1
	s_barrier_wait -1
	global_inv scope:SCOPE_SE
	v_cmpx_gt_u32_e32 32, v0
	s_cbranch_execz .LBB5_4
; %bb.3:
	v_lshlrev_b32_e32 v7, 2, v0
	ds_load_b32 v8, v7
	s_wait_dscnt 0x0
	v_mov_b32_dpp v9, v8 row_shr:1 row_mask:0xf bank_mask:0xf
	s_delay_alu instid0(VALU_DEP_1) | instskip(NEXT) | instid1(VALU_DEP_1)
	v_cndmask_b32_e64 v9, v9, 0, vcc_lo
	v_add_nc_u32_e32 v8, v9, v8
	s_delay_alu instid0(VALU_DEP_1) | instskip(NEXT) | instid1(VALU_DEP_1)
	v_mov_b32_dpp v9, v8 row_shr:2 row_mask:0xf bank_mask:0xf
	v_cndmask_b32_e64 v9, 0, v9, s0
	s_delay_alu instid0(VALU_DEP_1) | instskip(NEXT) | instid1(VALU_DEP_1)
	v_add_nc_u32_e32 v8, v8, v9
	v_mov_b32_dpp v9, v8 row_shr:4 row_mask:0xf bank_mask:0xf
	s_delay_alu instid0(VALU_DEP_1) | instskip(NEXT) | instid1(VALU_DEP_1)
	v_cndmask_b32_e64 v9, 0, v9, s1
	v_add_nc_u32_e32 v8, v8, v9
	s_delay_alu instid0(VALU_DEP_1) | instskip(NEXT) | instid1(VALU_DEP_1)
	v_mov_b32_dpp v9, v8 row_shr:8 row_mask:0xf bank_mask:0xf
	v_cndmask_b32_e64 v9, 0, v9, s2
	s_delay_alu instid0(VALU_DEP_1) | instskip(SKIP_3) | instid1(VALU_DEP_1)
	v_add_nc_u32_e32 v8, v8, v9
	ds_swizzle_b32 v9, v8 offset:swizzle(BROADCAST,32,15)
	s_wait_dscnt 0x0
	v_cndmask_b32_e64 v9, v9, 0, s3
	v_add_nc_u32_e32 v8, v8, v9
	ds_store_b32 v7, v8
.LBB5_4:
	s_or_b32 exec_lo, exec_lo, s8
	v_dual_mov_b32 v7, 0 :: v_dual_mov_b32 v8, 0
	s_wait_loadcnt_dscnt 0x0
	s_barrier_signal -1
	s_barrier_wait -1
	global_inv scope:SCOPE_SE
	s_and_saveexec_b32 s0, s4
; %bb.5:
	v_lshl_add_u32 v6, v6, 2, -4
	ds_load_b32 v8, v6
; %bb.6:
	s_wait_alu 0xfffe
	s_or_b32 exec_lo, exec_lo, s0
	v_sub_co_u32 v6, vcc_lo, v4, 1
	s_wait_dscnt 0x0
	v_add_nc_u32_e32 v5, v8, v5
	s_delay_alu instid0(VALU_DEP_2) | instskip(SKIP_1) | instid1(VALU_DEP_1)
	v_cmp_gt_i32_e64 s0, 0, v6
	s_wait_alu 0xf1ff
	v_cndmask_b32_e64 v4, v6, v4, s0
	v_add_co_u32 v1, s0, s6, v1
	s_delay_alu instid0(VALU_DEP_2)
	v_lshlrev_b32_e32 v4, 2, v4
	ds_bpermute_b32 v5, v4, v5
	ds_load_b32 v4, v7 offset:124
	s_wait_loadcnt_dscnt 0x0
	s_barrier_signal -1
	s_barrier_wait -1
	global_inv scope:SCOPE_SE
	s_wait_alu 0xfffd
	v_cndmask_b32_e32 v5, v5, v8, vcc_lo
	v_add_co_u32 v1, vcc_lo, v1, v2
	ds_store_b32 v3, v5
	; wave barrier
	ds_load_b32 v3, v3
	s_wait_alu 0xf1ff
	v_add_co_ci_u32_e64 v5, null, s7, 0, s0
	s_mov_b32 s0, exec_lo
	s_wait_alu 0xfffd
	v_add_co_ci_u32_e64 v2, null, 0, v5, vcc_lo
	s_wait_dscnt 0x0
	global_store_b32 v[1:2], v3, off
	v_cmpx_eq_u32_e32 0, v0
	s_cbranch_execz .LBB5_8
; %bb.7:
	v_mov_b32_e32 v0, 0
	global_store_b32 v0, v4, s[6:7] offset:4096
.LBB5_8:
	s_endpgm
	.section	.rodata,"a",@progbits
	.p2align	6, 0x0
	.amdhsa_kernel _Z20BlockPrefixSumKernelILi1024ELi1ELN6hipcub16HIPCUB_304000_NS18BlockScanAlgorithmE0EEvPKiPi
		.amdhsa_group_segment_fixed_size 4096
		.amdhsa_private_segment_fixed_size 0
		.amdhsa_kernarg_size 16
		.amdhsa_user_sgpr_count 2
		.amdhsa_user_sgpr_dispatch_ptr 0
		.amdhsa_user_sgpr_queue_ptr 0
		.amdhsa_user_sgpr_kernarg_segment_ptr 1
		.amdhsa_user_sgpr_dispatch_id 0
		.amdhsa_user_sgpr_private_segment_size 0
		.amdhsa_wavefront_size32 1
		.amdhsa_uses_dynamic_stack 0
		.amdhsa_enable_private_segment 0
		.amdhsa_system_sgpr_workgroup_id_x 1
		.amdhsa_system_sgpr_workgroup_id_y 0
		.amdhsa_system_sgpr_workgroup_id_z 0
		.amdhsa_system_sgpr_workgroup_info 0
		.amdhsa_system_vgpr_workitem_id 0
		.amdhsa_next_free_vgpr 10
		.amdhsa_next_free_sgpr 9
		.amdhsa_reserve_vcc 1
		.amdhsa_float_round_mode_32 0
		.amdhsa_float_round_mode_16_64 0
		.amdhsa_float_denorm_mode_32 3
		.amdhsa_float_denorm_mode_16_64 3
		.amdhsa_fp16_overflow 0
		.amdhsa_workgroup_processor_mode 1
		.amdhsa_memory_ordered 1
		.amdhsa_forward_progress 1
		.amdhsa_inst_pref_size 7
		.amdhsa_round_robin_scheduling 0
		.amdhsa_exception_fp_ieee_invalid_op 0
		.amdhsa_exception_fp_denorm_src 0
		.amdhsa_exception_fp_ieee_div_zero 0
		.amdhsa_exception_fp_ieee_overflow 0
		.amdhsa_exception_fp_ieee_underflow 0
		.amdhsa_exception_fp_ieee_inexact 0
		.amdhsa_exception_int_div_zero 0
	.end_amdhsa_kernel
	.section	.text._Z20BlockPrefixSumKernelILi1024ELi1ELN6hipcub16HIPCUB_304000_NS18BlockScanAlgorithmE0EEvPKiPi,"axG",@progbits,_Z20BlockPrefixSumKernelILi1024ELi1ELN6hipcub16HIPCUB_304000_NS18BlockScanAlgorithmE0EEvPKiPi,comdat
.Lfunc_end5:
	.size	_Z20BlockPrefixSumKernelILi1024ELi1ELN6hipcub16HIPCUB_304000_NS18BlockScanAlgorithmE0EEvPKiPi, .Lfunc_end5-_Z20BlockPrefixSumKernelILi1024ELi1ELN6hipcub16HIPCUB_304000_NS18BlockScanAlgorithmE0EEvPKiPi
                                        ; -- End function
	.set _Z20BlockPrefixSumKernelILi1024ELi1ELN6hipcub16HIPCUB_304000_NS18BlockScanAlgorithmE0EEvPKiPi.num_vgpr, 10
	.set _Z20BlockPrefixSumKernelILi1024ELi1ELN6hipcub16HIPCUB_304000_NS18BlockScanAlgorithmE0EEvPKiPi.num_agpr, 0
	.set _Z20BlockPrefixSumKernelILi1024ELi1ELN6hipcub16HIPCUB_304000_NS18BlockScanAlgorithmE0EEvPKiPi.numbered_sgpr, 9
	.set _Z20BlockPrefixSumKernelILi1024ELi1ELN6hipcub16HIPCUB_304000_NS18BlockScanAlgorithmE0EEvPKiPi.num_named_barrier, 0
	.set _Z20BlockPrefixSumKernelILi1024ELi1ELN6hipcub16HIPCUB_304000_NS18BlockScanAlgorithmE0EEvPKiPi.private_seg_size, 0
	.set _Z20BlockPrefixSumKernelILi1024ELi1ELN6hipcub16HIPCUB_304000_NS18BlockScanAlgorithmE0EEvPKiPi.uses_vcc, 1
	.set _Z20BlockPrefixSumKernelILi1024ELi1ELN6hipcub16HIPCUB_304000_NS18BlockScanAlgorithmE0EEvPKiPi.uses_flat_scratch, 0
	.set _Z20BlockPrefixSumKernelILi1024ELi1ELN6hipcub16HIPCUB_304000_NS18BlockScanAlgorithmE0EEvPKiPi.has_dyn_sized_stack, 0
	.set _Z20BlockPrefixSumKernelILi1024ELi1ELN6hipcub16HIPCUB_304000_NS18BlockScanAlgorithmE0EEvPKiPi.has_recursion, 0
	.set _Z20BlockPrefixSumKernelILi1024ELi1ELN6hipcub16HIPCUB_304000_NS18BlockScanAlgorithmE0EEvPKiPi.has_indirect_call, 0
	.section	.AMDGPU.csdata,"",@progbits
; Kernel info:
; codeLenInByte = 824
; TotalNumSgprs: 11
; NumVgprs: 10
; ScratchSize: 0
; MemoryBound: 0
; FloatMode: 240
; IeeeMode: 1
; LDSByteSize: 4096 bytes/workgroup (compile time only)
; SGPRBlocks: 0
; VGPRBlocks: 1
; NumSGPRsForWavesPerEU: 11
; NumVGPRsForWavesPerEU: 10
; Occupancy: 16
; WaveLimiterHint : 0
; COMPUTE_PGM_RSRC2:SCRATCH_EN: 0
; COMPUTE_PGM_RSRC2:USER_SGPR: 2
; COMPUTE_PGM_RSRC2:TRAP_HANDLER: 0
; COMPUTE_PGM_RSRC2:TGID_X_EN: 1
; COMPUTE_PGM_RSRC2:TGID_Y_EN: 0
; COMPUTE_PGM_RSRC2:TGID_Z_EN: 0
; COMPUTE_PGM_RSRC2:TIDIG_COMP_CNT: 0
	.section	.text._Z20BlockPrefixSumKernelILi512ELi2ELN6hipcub16HIPCUB_304000_NS18BlockScanAlgorithmE0EEvPKiPi,"axG",@progbits,_Z20BlockPrefixSumKernelILi512ELi2ELN6hipcub16HIPCUB_304000_NS18BlockScanAlgorithmE0EEvPKiPi,comdat
	.protected	_Z20BlockPrefixSumKernelILi512ELi2ELN6hipcub16HIPCUB_304000_NS18BlockScanAlgorithmE0EEvPKiPi ; -- Begin function _Z20BlockPrefixSumKernelILi512ELi2ELN6hipcub16HIPCUB_304000_NS18BlockScanAlgorithmE0EEvPKiPi
	.globl	_Z20BlockPrefixSumKernelILi512ELi2ELN6hipcub16HIPCUB_304000_NS18BlockScanAlgorithmE0EEvPKiPi
	.p2align	8
	.type	_Z20BlockPrefixSumKernelILi512ELi2ELN6hipcub16HIPCUB_304000_NS18BlockScanAlgorithmE0EEvPKiPi,@function
_Z20BlockPrefixSumKernelILi512ELi2ELN6hipcub16HIPCUB_304000_NS18BlockScanAlgorithmE0EEvPKiPi: ; @_Z20BlockPrefixSumKernelILi512ELi2ELN6hipcub16HIPCUB_304000_NS18BlockScanAlgorithmE0EEvPKiPi
; %bb.0:
	s_load_b128 s[4:7], s[0:1], 0x0
	v_lshlrev_b32_e32 v1, 1, v0
	v_mbcnt_lo_u32_b32 v5, -1, 0
	v_and_b32_e32 v10, 0x3e0, v0
	s_delay_alu instid0(VALU_DEP_3) | instskip(NEXT) | instid1(VALU_DEP_3)
	v_and_b32_e32 v6, 0x7c0, v1
	v_lshlrev_b32_e32 v3, 2, v5
	s_delay_alu instid0(VALU_DEP_3) | instskip(SKIP_1) | instid1(VALU_DEP_4)
	v_or_b32_e32 v8, v5, v10
	v_min_u32_e32 v10, 0x1e0, v10
	v_lshlrev_b32_e32 v4, 2, v6
	v_or_b32_e32 v7, 32, v6
	s_delay_alu instid0(VALU_DEP_4) | instskip(SKIP_2) | instid1(VALU_DEP_4)
	v_lshlrev_b32_e32 v11, 1, v8
	v_bfe_u32 v8, v8, 4, 27
	v_or_b32_e32 v10, 31, v10
	v_lshrrev_b32_e32 v7, 3, v7
	s_delay_alu instid0(VALU_DEP_3) | instskip(SKIP_2) | instid1(VALU_DEP_1)
	v_add_lshl_u32 v8, v8, v11, 2
	s_wait_kmcnt 0x0
	v_add_co_u32 v1, s0, s4, v3
	v_add_co_ci_u32_e64 v2, null, s5, 0, s0
	s_mov_b32 s4, exec_lo
	v_add_co_u32 v1, vcc_lo, v1, v4
	s_delay_alu instid0(VALU_DEP_1)
	v_add_co_ci_u32_e64 v2, null, 0, v2, vcc_lo
	s_clause 0x1
	global_load_b32 v9, v[1:2], off
	global_load_b32 v1, v[1:2], off offset:128
	v_or_b32_e32 v2, v5, v6
	v_lshrrev_b32_e32 v6, 3, v6
	s_delay_alu instid0(VALU_DEP_2) | instskip(NEXT) | instid1(VALU_DEP_1)
	v_lshlrev_b32_e32 v2, 2, v2
	v_add_nc_u32_e32 v6, v6, v2
	v_add_nc_u32_e32 v7, v7, v2
	s_wait_loadcnt 0x1
	ds_store_b32 v6, v9
	s_wait_loadcnt 0x0
	ds_store_b32 v7, v1 offset:128
	; wave barrier
	ds_load_2addr_b32 v[1:2], v8 offset1:1
	v_and_b32_e32 v9, 15, v5
	s_wait_dscnt 0x0
	s_barrier_signal -1
	s_barrier_wait -1
	global_inv scope:SCOPE_SE
	v_cmp_eq_u32_e32 vcc_lo, 0, v9
	v_cmp_lt_u32_e64 s0, 1, v9
	v_cmp_lt_u32_e64 s1, 3, v9
	;; [unrolled: 1-line block ×3, first 2 shown]
	v_add_nc_u32_e32 v2, v2, v1
	s_delay_alu instid0(VALU_DEP_1) | instskip(SKIP_1) | instid1(VALU_DEP_1)
	v_mov_b32_dpp v11, v2 row_shr:1 row_mask:0xf bank_mask:0xf
	s_wait_alu 0xfffd
	v_cndmask_b32_e64 v11, v11, 0, vcc_lo
	s_delay_alu instid0(VALU_DEP_1) | instskip(NEXT) | instid1(VALU_DEP_1)
	v_add_nc_u32_e32 v2, v11, v2
	v_mov_b32_dpp v11, v2 row_shr:2 row_mask:0xf bank_mask:0xf
	s_wait_alu 0xf1ff
	s_delay_alu instid0(VALU_DEP_1) | instskip(NEXT) | instid1(VALU_DEP_1)
	v_cndmask_b32_e64 v11, 0, v11, s0
	v_add_nc_u32_e32 v2, v2, v11
	s_delay_alu instid0(VALU_DEP_1) | instskip(NEXT) | instid1(VALU_DEP_1)
	v_mov_b32_dpp v11, v2 row_shr:4 row_mask:0xf bank_mask:0xf
	v_cndmask_b32_e64 v11, 0, v11, s1
	s_delay_alu instid0(VALU_DEP_1) | instskip(NEXT) | instid1(VALU_DEP_1)
	v_add_nc_u32_e32 v2, v2, v11
	v_mov_b32_dpp v11, v2 row_shr:8 row_mask:0xf bank_mask:0xf
	s_delay_alu instid0(VALU_DEP_1) | instskip(SKIP_1) | instid1(VALU_DEP_2)
	v_cndmask_b32_e64 v9, 0, v11, s2
	v_bfe_i32 v11, v5, 4, 1
	v_add_nc_u32_e32 v2, v2, v9
	ds_swizzle_b32 v9, v2 offset:swizzle(BROADCAST,32,15)
	s_wait_dscnt 0x0
	v_and_b32_e32 v11, v11, v9
	v_lshrrev_b32_e32 v9, 5, v0
	s_delay_alu instid0(VALU_DEP_2)
	v_add_nc_u32_e32 v2, v2, v11
	v_cmpx_eq_u32_e64 v0, v10
; %bb.1:
	s_delay_alu instid0(VALU_DEP_3)
	v_lshlrev_b32_e32 v10, 2, v9
	ds_store_b32 v10, v2
; %bb.2:
	s_wait_alu 0xfffe
	s_or_b32 exec_lo, exec_lo, s4
	s_delay_alu instid0(SALU_CYCLE_1)
	s_mov_b32 s4, exec_lo
	s_wait_loadcnt_dscnt 0x0
	s_barrier_signal -1
	s_barrier_wait -1
	global_inv scope:SCOPE_SE
	v_cmpx_gt_u32_e32 16, v0
	s_cbranch_execz .LBB6_4
; %bb.3:
	v_lshlrev_b32_e32 v10, 2, v0
	ds_load_b32 v11, v10
	s_wait_dscnt 0x0
	v_mov_b32_dpp v12, v11 row_shr:1 row_mask:0xf bank_mask:0xf
	s_delay_alu instid0(VALU_DEP_1) | instskip(NEXT) | instid1(VALU_DEP_1)
	v_cndmask_b32_e64 v12, v12, 0, vcc_lo
	v_add_nc_u32_e32 v11, v12, v11
	s_delay_alu instid0(VALU_DEP_1) | instskip(NEXT) | instid1(VALU_DEP_1)
	v_mov_b32_dpp v12, v11 row_shr:2 row_mask:0xf bank_mask:0xf
	v_cndmask_b32_e64 v12, 0, v12, s0
	s_delay_alu instid0(VALU_DEP_1) | instskip(NEXT) | instid1(VALU_DEP_1)
	v_add_nc_u32_e32 v11, v11, v12
	v_mov_b32_dpp v12, v11 row_shr:4 row_mask:0xf bank_mask:0xf
	s_delay_alu instid0(VALU_DEP_1) | instskip(NEXT) | instid1(VALU_DEP_1)
	v_cndmask_b32_e64 v12, 0, v12, s1
	v_add_nc_u32_e32 v11, v11, v12
	s_delay_alu instid0(VALU_DEP_1) | instskip(NEXT) | instid1(VALU_DEP_1)
	v_mov_b32_dpp v12, v11 row_shr:8 row_mask:0xf bank_mask:0xf
	v_cndmask_b32_e64 v12, 0, v12, s2
	s_delay_alu instid0(VALU_DEP_1)
	v_add_nc_u32_e32 v11, v11, v12
	ds_store_b32 v10, v11
.LBB6_4:
	s_wait_alu 0xfffe
	s_or_b32 exec_lo, exec_lo, s4
	v_dual_mov_b32 v10, 0 :: v_dual_mov_b32 v11, 0
	s_mov_b32 s0, exec_lo
	s_wait_loadcnt_dscnt 0x0
	s_barrier_signal -1
	s_barrier_wait -1
	global_inv scope:SCOPE_SE
	v_cmpx_lt_u32_e32 31, v0
; %bb.5:
	v_lshl_add_u32 v9, v9, 2, -4
	ds_load_b32 v11, v9
; %bb.6:
	s_wait_alu 0xfffe
	s_or_b32 exec_lo, exec_lo, s0
	v_sub_co_u32 v9, vcc_lo, v5, 1
	s_wait_dscnt 0x0
	v_add_nc_u32_e32 v2, v11, v2
	s_delay_alu instid0(VALU_DEP_2) | instskip(SKIP_1) | instid1(VALU_DEP_1)
	v_cmp_gt_i32_e64 s0, 0, v9
	s_wait_alu 0xf1ff
	v_cndmask_b32_e64 v5, v9, v5, s0
	s_delay_alu instid0(VALU_DEP_1)
	v_lshlrev_b32_e32 v5, 2, v5
	ds_bpermute_b32 v2, v5, v2
	s_wait_dscnt 0x0
	s_wait_alu 0xfffd
	v_cndmask_b32_e32 v2, v2, v11, vcc_lo
	v_cmp_eq_u32_e32 vcc_lo, 0, v0
	ds_load_b32 v0, v10 offset:60
	s_wait_loadcnt_dscnt 0x0
	s_barrier_signal -1
	s_barrier_wait -1
	s_wait_alu 0xfffd
	v_cndmask_b32_e64 v2, v2, 0, vcc_lo
	global_inv scope:SCOPE_SE
	v_add_nc_u32_e32 v1, v2, v1
	ds_store_2addr_b32 v8, v2, v1 offset1:1
	; wave barrier
	ds_load_b32 v5, v6
	ds_load_b32 v6, v7 offset:128
	v_add_co_u32 v1, s0, s6, v3
	s_wait_alu 0xf1ff
	v_add_co_ci_u32_e64 v2, null, s7, 0, s0
	s_delay_alu instid0(VALU_DEP_2) | instskip(SKIP_1) | instid1(VALU_DEP_2)
	v_add_co_u32 v1, s0, v1, v4
	s_wait_alu 0xf1ff
	v_add_co_ci_u32_e64 v2, null, 0, v2, s0
	s_wait_dscnt 0x1
	global_store_b32 v[1:2], v5, off
	s_wait_dscnt 0x0
	global_store_b32 v[1:2], v6, off offset:128
	s_and_saveexec_b32 s0, vcc_lo
	s_cbranch_execz .LBB6_8
; %bb.7:
	v_mov_b32_e32 v1, 0
	global_store_b32 v1, v0, s[6:7] offset:4096
.LBB6_8:
	s_endpgm
	.section	.rodata,"a",@progbits
	.p2align	6, 0x0
	.amdhsa_kernel _Z20BlockPrefixSumKernelILi512ELi2ELN6hipcub16HIPCUB_304000_NS18BlockScanAlgorithmE0EEvPKiPi
		.amdhsa_group_segment_fixed_size 4224
		.amdhsa_private_segment_fixed_size 0
		.amdhsa_kernarg_size 16
		.amdhsa_user_sgpr_count 2
		.amdhsa_user_sgpr_dispatch_ptr 0
		.amdhsa_user_sgpr_queue_ptr 0
		.amdhsa_user_sgpr_kernarg_segment_ptr 1
		.amdhsa_user_sgpr_dispatch_id 0
		.amdhsa_user_sgpr_private_segment_size 0
		.amdhsa_wavefront_size32 1
		.amdhsa_uses_dynamic_stack 0
		.amdhsa_enable_private_segment 0
		.amdhsa_system_sgpr_workgroup_id_x 1
		.amdhsa_system_sgpr_workgroup_id_y 0
		.amdhsa_system_sgpr_workgroup_id_z 0
		.amdhsa_system_sgpr_workgroup_info 0
		.amdhsa_system_vgpr_workitem_id 0
		.amdhsa_next_free_vgpr 13
		.amdhsa_next_free_sgpr 8
		.amdhsa_reserve_vcc 1
		.amdhsa_float_round_mode_32 0
		.amdhsa_float_round_mode_16_64 0
		.amdhsa_float_denorm_mode_32 3
		.amdhsa_float_denorm_mode_16_64 3
		.amdhsa_fp16_overflow 0
		.amdhsa_workgroup_processor_mode 1
		.amdhsa_memory_ordered 1
		.amdhsa_forward_progress 1
		.amdhsa_inst_pref_size 8
		.amdhsa_round_robin_scheduling 0
		.amdhsa_exception_fp_ieee_invalid_op 0
		.amdhsa_exception_fp_denorm_src 0
		.amdhsa_exception_fp_ieee_div_zero 0
		.amdhsa_exception_fp_ieee_overflow 0
		.amdhsa_exception_fp_ieee_underflow 0
		.amdhsa_exception_fp_ieee_inexact 0
		.amdhsa_exception_int_div_zero 0
	.end_amdhsa_kernel
	.section	.text._Z20BlockPrefixSumKernelILi512ELi2ELN6hipcub16HIPCUB_304000_NS18BlockScanAlgorithmE0EEvPKiPi,"axG",@progbits,_Z20BlockPrefixSumKernelILi512ELi2ELN6hipcub16HIPCUB_304000_NS18BlockScanAlgorithmE0EEvPKiPi,comdat
.Lfunc_end6:
	.size	_Z20BlockPrefixSumKernelILi512ELi2ELN6hipcub16HIPCUB_304000_NS18BlockScanAlgorithmE0EEvPKiPi, .Lfunc_end6-_Z20BlockPrefixSumKernelILi512ELi2ELN6hipcub16HIPCUB_304000_NS18BlockScanAlgorithmE0EEvPKiPi
                                        ; -- End function
	.set _Z20BlockPrefixSumKernelILi512ELi2ELN6hipcub16HIPCUB_304000_NS18BlockScanAlgorithmE0EEvPKiPi.num_vgpr, 13
	.set _Z20BlockPrefixSumKernelILi512ELi2ELN6hipcub16HIPCUB_304000_NS18BlockScanAlgorithmE0EEvPKiPi.num_agpr, 0
	.set _Z20BlockPrefixSumKernelILi512ELi2ELN6hipcub16HIPCUB_304000_NS18BlockScanAlgorithmE0EEvPKiPi.numbered_sgpr, 8
	.set _Z20BlockPrefixSumKernelILi512ELi2ELN6hipcub16HIPCUB_304000_NS18BlockScanAlgorithmE0EEvPKiPi.num_named_barrier, 0
	.set _Z20BlockPrefixSumKernelILi512ELi2ELN6hipcub16HIPCUB_304000_NS18BlockScanAlgorithmE0EEvPKiPi.private_seg_size, 0
	.set _Z20BlockPrefixSumKernelILi512ELi2ELN6hipcub16HIPCUB_304000_NS18BlockScanAlgorithmE0EEvPKiPi.uses_vcc, 1
	.set _Z20BlockPrefixSumKernelILi512ELi2ELN6hipcub16HIPCUB_304000_NS18BlockScanAlgorithmE0EEvPKiPi.uses_flat_scratch, 0
	.set _Z20BlockPrefixSumKernelILi512ELi2ELN6hipcub16HIPCUB_304000_NS18BlockScanAlgorithmE0EEvPKiPi.has_dyn_sized_stack, 0
	.set _Z20BlockPrefixSumKernelILi512ELi2ELN6hipcub16HIPCUB_304000_NS18BlockScanAlgorithmE0EEvPKiPi.has_recursion, 0
	.set _Z20BlockPrefixSumKernelILi512ELi2ELN6hipcub16HIPCUB_304000_NS18BlockScanAlgorithmE0EEvPKiPi.has_indirect_call, 0
	.section	.AMDGPU.csdata,"",@progbits
; Kernel info:
; codeLenInByte = 960
; TotalNumSgprs: 10
; NumVgprs: 13
; ScratchSize: 0
; MemoryBound: 0
; FloatMode: 240
; IeeeMode: 1
; LDSByteSize: 4224 bytes/workgroup (compile time only)
; SGPRBlocks: 0
; VGPRBlocks: 1
; NumSGPRsForWavesPerEU: 10
; NumVGPRsForWavesPerEU: 13
; Occupancy: 16
; WaveLimiterHint : 1
; COMPUTE_PGM_RSRC2:SCRATCH_EN: 0
; COMPUTE_PGM_RSRC2:USER_SGPR: 2
; COMPUTE_PGM_RSRC2:TRAP_HANDLER: 0
; COMPUTE_PGM_RSRC2:TGID_X_EN: 1
; COMPUTE_PGM_RSRC2:TGID_Y_EN: 0
; COMPUTE_PGM_RSRC2:TGID_Z_EN: 0
; COMPUTE_PGM_RSRC2:TIDIG_COMP_CNT: 0
	.section	.text._Z20BlockPrefixSumKernelILi256ELi4ELN6hipcub16HIPCUB_304000_NS18BlockScanAlgorithmE0EEvPKiPi,"axG",@progbits,_Z20BlockPrefixSumKernelILi256ELi4ELN6hipcub16HIPCUB_304000_NS18BlockScanAlgorithmE0EEvPKiPi,comdat
	.protected	_Z20BlockPrefixSumKernelILi256ELi4ELN6hipcub16HIPCUB_304000_NS18BlockScanAlgorithmE0EEvPKiPi ; -- Begin function _Z20BlockPrefixSumKernelILi256ELi4ELN6hipcub16HIPCUB_304000_NS18BlockScanAlgorithmE0EEvPKiPi
	.globl	_Z20BlockPrefixSumKernelILi256ELi4ELN6hipcub16HIPCUB_304000_NS18BlockScanAlgorithmE0EEvPKiPi
	.p2align	8
	.type	_Z20BlockPrefixSumKernelILi256ELi4ELN6hipcub16HIPCUB_304000_NS18BlockScanAlgorithmE0EEvPKiPi,@function
_Z20BlockPrefixSumKernelILi256ELi4ELN6hipcub16HIPCUB_304000_NS18BlockScanAlgorithmE0EEvPKiPi: ; @_Z20BlockPrefixSumKernelILi256ELi4ELN6hipcub16HIPCUB_304000_NS18BlockScanAlgorithmE0EEvPKiPi
; %bb.0:
	s_load_b128 s[0:3], s[0:1], 0x0
	v_lshlrev_b32_e32 v12, 2, v0
	v_mbcnt_lo_u32_b32 v7, -1, 0
	v_and_b32_e32 v16, 0x3e0, v0
	s_delay_alu instid0(VALU_DEP_3) | instskip(NEXT) | instid1(VALU_DEP_3)
	v_and_b32_e32 v3, 0xf80, v12
	v_lshlrev_b32_e32 v5, 2, v7
	s_delay_alu instid0(VALU_DEP_2)
	v_lshlrev_b32_e32 v6, 2, v3
	v_or_b32_e32 v8, v7, v3
	v_or_b32_e32 v10, 32, v3
	;; [unrolled: 1-line block ×3, first 2 shown]
	v_lshrrev_b32_e32 v9, 3, v3
	v_or_b32_e32 v3, 0x60, v3
	v_lshlrev_b32_e32 v17, 2, v8
	v_lshrrev_b32_e32 v10, 3, v10
	v_lshrrev_b32_e32 v11, 3, v11
	s_wait_kmcnt 0x0
	v_add_co_u32 v1, s0, s0, v5
	s_wait_alu 0xf1ff
	v_add_co_ci_u32_e64 v2, null, s1, 0, s0
	v_lshrrev_b32_e32 v3, 3, v3
	s_delay_alu instid0(VALU_DEP_3) | instskip(NEXT) | instid1(VALU_DEP_1)
	v_add_co_u32 v1, vcc_lo, v1, v6
	v_add_co_ci_u32_e64 v2, null, 0, v2, vcc_lo
	v_add_nc_u32_e32 v8, v9, v17
	v_add_nc_u32_e32 v9, v10, v17
	;; [unrolled: 1-line block ×3, first 2 shown]
	s_clause 0x3
	global_load_b32 v4, v[1:2], off
	global_load_b32 v14, v[1:2], off offset:128
	global_load_b32 v15, v[1:2], off offset:256
	;; [unrolled: 1-line block ×3, first 2 shown]
	v_or_b32_e32 v2, v7, v16
	v_add_nc_u32_e32 v11, v3, v17
	s_mov_b32 s0, exec_lo
	s_wait_loadcnt 0x3
	ds_store_b32 v8, v4
	s_wait_loadcnt 0x2
	ds_store_b32 v9, v14 offset:128
	s_wait_loadcnt 0x1
	ds_store_b32 v10, v15 offset:256
	;; [unrolled: 2-line block ×3, first 2 shown]
	v_lshlrev_b32_e32 v13, 2, v2
	v_bfe_u32 v2, v2, 3, 27
	; wave barrier
	s_delay_alu instid0(VALU_DEP_1)
	v_add_lshl_u32 v13, v2, v13, 2
	ds_load_2addr_b32 v[3:4], v13 offset1:1
	ds_load_2addr_b32 v[1:2], v13 offset0:2 offset1:3
	s_wait_dscnt 0x0
	s_barrier_signal -1
	s_barrier_wait -1
	global_inv scope:SCOPE_SE
	v_add_nc_u32_e32 v14, v4, v3
	s_delay_alu instid0(VALU_DEP_1) | instskip(SKIP_1) | instid1(VALU_DEP_2)
	v_add3_u32 v2, v14, v1, v2
	v_and_b32_e32 v14, 15, v7
	v_mov_b32_dpp v15, v2 row_shr:1 row_mask:0xf bank_mask:0xf
	s_delay_alu instid0(VALU_DEP_2) | instskip(SKIP_1) | instid1(VALU_DEP_2)
	v_cmp_ne_u32_e32 vcc_lo, 0, v14
	s_wait_alu 0xfffd
	v_cndmask_b32_e32 v15, 0, v15, vcc_lo
	v_cmp_lt_u32_e32 vcc_lo, 1, v14
	s_delay_alu instid0(VALU_DEP_2) | instskip(NEXT) | instid1(VALU_DEP_1)
	v_add_nc_u32_e32 v2, v15, v2
	v_mov_b32_dpp v15, v2 row_shr:2 row_mask:0xf bank_mask:0xf
	s_wait_alu 0xfffd
	s_delay_alu instid0(VALU_DEP_1) | instskip(SKIP_2) | instid1(VALU_DEP_3)
	v_cndmask_b32_e32 v15, 0, v15, vcc_lo
	v_cmp_lt_u32_e32 vcc_lo, 3, v14
	v_min_u32_e32 v16, 0xe0, v16
	v_add_nc_u32_e32 v2, v2, v15
	s_delay_alu instid0(VALU_DEP_2) | instskip(NEXT) | instid1(VALU_DEP_2)
	v_or_b32_e32 v16, 31, v16
	v_mov_b32_dpp v15, v2 row_shr:4 row_mask:0xf bank_mask:0xf
	s_wait_alu 0xfffd
	s_delay_alu instid0(VALU_DEP_1) | instskip(SKIP_1) | instid1(VALU_DEP_2)
	v_cndmask_b32_e32 v15, 0, v15, vcc_lo
	v_cmp_lt_u32_e32 vcc_lo, 7, v14
	v_add_nc_u32_e32 v2, v2, v15
	s_delay_alu instid0(VALU_DEP_1) | instskip(SKIP_1) | instid1(VALU_DEP_1)
	v_mov_b32_dpp v15, v2 row_shr:8 row_mask:0xf bank_mask:0xf
	s_wait_alu 0xfffd
	v_cndmask_b32_e32 v14, 0, v15, vcc_lo
	v_bfe_i32 v15, v7, 4, 1
	s_delay_alu instid0(VALU_DEP_2) | instskip(SKIP_4) | instid1(VALU_DEP_2)
	v_add_nc_u32_e32 v2, v2, v14
	ds_swizzle_b32 v14, v2 offset:swizzle(BROADCAST,32,15)
	s_wait_dscnt 0x0
	v_and_b32_e32 v15, v15, v14
	v_lshrrev_b32_e32 v14, 5, v0
	v_add_nc_u32_e32 v2, v2, v15
	v_cmpx_eq_u32_e64 v0, v16
; %bb.1:
	s_delay_alu instid0(VALU_DEP_3)
	v_lshlrev_b32_e32 v15, 2, v14
	ds_store_b32 v15, v2
; %bb.2:
	s_wait_alu 0xfffe
	s_or_b32 exec_lo, exec_lo, s0
	s_delay_alu instid0(SALU_CYCLE_1)
	s_mov_b32 s0, exec_lo
	s_wait_loadcnt_dscnt 0x0
	s_barrier_signal -1
	s_barrier_wait -1
	global_inv scope:SCOPE_SE
	v_cmpx_gt_u32_e32 8, v0
	s_cbranch_execz .LBB7_4
; %bb.3:
	ds_load_b32 v15, v12
	s_wait_dscnt 0x0
	v_mov_b32_dpp v17, v15 row_shr:1 row_mask:0xf bank_mask:0xf
	v_and_b32_e32 v16, 7, v7
	s_delay_alu instid0(VALU_DEP_1) | instskip(SKIP_1) | instid1(VALU_DEP_3)
	v_cmp_ne_u32_e32 vcc_lo, 0, v16
	s_wait_alu 0xfffd
	v_cndmask_b32_e32 v17, 0, v17, vcc_lo
	v_cmp_lt_u32_e32 vcc_lo, 1, v16
	s_delay_alu instid0(VALU_DEP_2) | instskip(NEXT) | instid1(VALU_DEP_1)
	v_add_nc_u32_e32 v15, v17, v15
	v_mov_b32_dpp v17, v15 row_shr:2 row_mask:0xf bank_mask:0xf
	s_wait_alu 0xfffd
	s_delay_alu instid0(VALU_DEP_1) | instskip(SKIP_1) | instid1(VALU_DEP_2)
	v_cndmask_b32_e32 v17, 0, v17, vcc_lo
	v_cmp_lt_u32_e32 vcc_lo, 3, v16
	v_add_nc_u32_e32 v15, v15, v17
	s_delay_alu instid0(VALU_DEP_1) | instskip(SKIP_1) | instid1(VALU_DEP_1)
	v_mov_b32_dpp v17, v15 row_shr:4 row_mask:0xf bank_mask:0xf
	s_wait_alu 0xfffd
	v_cndmask_b32_e32 v16, 0, v17, vcc_lo
	s_delay_alu instid0(VALU_DEP_1)
	v_add_nc_u32_e32 v15, v15, v16
	ds_store_b32 v12, v15
.LBB7_4:
	s_wait_alu 0xfffe
	s_or_b32 exec_lo, exec_lo, s0
	v_dual_mov_b32 v12, 0 :: v_dual_mov_b32 v15, 0
	s_mov_b32 s0, exec_lo
	s_wait_loadcnt_dscnt 0x0
	s_barrier_signal -1
	s_barrier_wait -1
	global_inv scope:SCOPE_SE
	v_cmpx_lt_u32_e32 31, v0
; %bb.5:
	v_lshl_add_u32 v14, v14, 2, -4
	ds_load_b32 v15, v14
; %bb.6:
	s_wait_alu 0xfffe
	s_or_b32 exec_lo, exec_lo, s0
	v_sub_co_u32 v14, vcc_lo, v7, 1
	s_wait_dscnt 0x0
	v_add_nc_u32_e32 v2, v15, v2
	s_delay_alu instid0(VALU_DEP_2) | instskip(SKIP_1) | instid1(VALU_DEP_1)
	v_cmp_gt_i32_e64 s0, 0, v14
	s_wait_alu 0xf1ff
	v_cndmask_b32_e64 v7, v14, v7, s0
	s_delay_alu instid0(VALU_DEP_1)
	v_lshlrev_b32_e32 v7, 2, v7
	ds_bpermute_b32 v2, v7, v2
	s_wait_dscnt 0x0
	s_wait_alu 0xfffd
	v_cndmask_b32_e32 v2, v2, v15, vcc_lo
	v_cmp_eq_u32_e32 vcc_lo, 0, v0
	ds_load_b32 v0, v12 offset:28
	s_wait_loadcnt_dscnt 0x0
	s_barrier_signal -1
	s_barrier_wait -1
	s_wait_alu 0xfffd
	v_cndmask_b32_e64 v2, v2, 0, vcc_lo
	global_inv scope:SCOPE_SE
	v_add_nc_u32_e32 v3, v2, v3
	s_delay_alu instid0(VALU_DEP_1) | instskip(NEXT) | instid1(VALU_DEP_1)
	v_add_nc_u32_e32 v4, v3, v4
	v_add_nc_u32_e32 v1, v4, v1
	ds_store_2addr_b32 v13, v2, v3 offset1:1
	ds_store_2addr_b32 v13, v4, v1 offset0:2 offset1:3
	; wave barrier
	ds_load_b32 v3, v8
	ds_load_b32 v4, v9 offset:128
	ds_load_b32 v7, v10 offset:256
	;; [unrolled: 1-line block ×3, first 2 shown]
	v_add_co_u32 v1, s0, s2, v5
	s_wait_alu 0xf1ff
	v_add_co_ci_u32_e64 v2, null, s3, 0, s0
	s_delay_alu instid0(VALU_DEP_2) | instskip(SKIP_1) | instid1(VALU_DEP_2)
	v_add_co_u32 v1, s0, v1, v6
	s_wait_alu 0xf1ff
	v_add_co_ci_u32_e64 v2, null, 0, v2, s0
	s_wait_dscnt 0x3
	global_store_b32 v[1:2], v3, off
	s_wait_dscnt 0x2
	global_store_b32 v[1:2], v4, off offset:128
	s_wait_dscnt 0x1
	global_store_b32 v[1:2], v7, off offset:256
	;; [unrolled: 2-line block ×3, first 2 shown]
	s_and_saveexec_b32 s0, vcc_lo
	s_cbranch_execz .LBB7_8
; %bb.7:
	v_mov_b32_e32 v1, 0
	global_store_b32 v1, v0, s[2:3] offset:4096
.LBB7_8:
	s_endpgm
	.section	.rodata,"a",@progbits
	.p2align	6, 0x0
	.amdhsa_kernel _Z20BlockPrefixSumKernelILi256ELi4ELN6hipcub16HIPCUB_304000_NS18BlockScanAlgorithmE0EEvPKiPi
		.amdhsa_group_segment_fixed_size 4224
		.amdhsa_private_segment_fixed_size 0
		.amdhsa_kernarg_size 16
		.amdhsa_user_sgpr_count 2
		.amdhsa_user_sgpr_dispatch_ptr 0
		.amdhsa_user_sgpr_queue_ptr 0
		.amdhsa_user_sgpr_kernarg_segment_ptr 1
		.amdhsa_user_sgpr_dispatch_id 0
		.amdhsa_user_sgpr_private_segment_size 0
		.amdhsa_wavefront_size32 1
		.amdhsa_uses_dynamic_stack 0
		.amdhsa_enable_private_segment 0
		.amdhsa_system_sgpr_workgroup_id_x 1
		.amdhsa_system_sgpr_workgroup_id_y 0
		.amdhsa_system_sgpr_workgroup_id_z 0
		.amdhsa_system_sgpr_workgroup_info 0
		.amdhsa_system_vgpr_workitem_id 0
		.amdhsa_next_free_vgpr 18
		.amdhsa_next_free_sgpr 4
		.amdhsa_reserve_vcc 1
		.amdhsa_float_round_mode_32 0
		.amdhsa_float_round_mode_16_64 0
		.amdhsa_float_denorm_mode_32 3
		.amdhsa_float_denorm_mode_16_64 3
		.amdhsa_fp16_overflow 0
		.amdhsa_workgroup_processor_mode 1
		.amdhsa_memory_ordered 1
		.amdhsa_forward_progress 1
		.amdhsa_inst_pref_size 9
		.amdhsa_round_robin_scheduling 0
		.amdhsa_exception_fp_ieee_invalid_op 0
		.amdhsa_exception_fp_denorm_src 0
		.amdhsa_exception_fp_ieee_div_zero 0
		.amdhsa_exception_fp_ieee_overflow 0
		.amdhsa_exception_fp_ieee_underflow 0
		.amdhsa_exception_fp_ieee_inexact 0
		.amdhsa_exception_int_div_zero 0
	.end_amdhsa_kernel
	.section	.text._Z20BlockPrefixSumKernelILi256ELi4ELN6hipcub16HIPCUB_304000_NS18BlockScanAlgorithmE0EEvPKiPi,"axG",@progbits,_Z20BlockPrefixSumKernelILi256ELi4ELN6hipcub16HIPCUB_304000_NS18BlockScanAlgorithmE0EEvPKiPi,comdat
.Lfunc_end7:
	.size	_Z20BlockPrefixSumKernelILi256ELi4ELN6hipcub16HIPCUB_304000_NS18BlockScanAlgorithmE0EEvPKiPi, .Lfunc_end7-_Z20BlockPrefixSumKernelILi256ELi4ELN6hipcub16HIPCUB_304000_NS18BlockScanAlgorithmE0EEvPKiPi
                                        ; -- End function
	.set _Z20BlockPrefixSumKernelILi256ELi4ELN6hipcub16HIPCUB_304000_NS18BlockScanAlgorithmE0EEvPKiPi.num_vgpr, 18
	.set _Z20BlockPrefixSumKernelILi256ELi4ELN6hipcub16HIPCUB_304000_NS18BlockScanAlgorithmE0EEvPKiPi.num_agpr, 0
	.set _Z20BlockPrefixSumKernelILi256ELi4ELN6hipcub16HIPCUB_304000_NS18BlockScanAlgorithmE0EEvPKiPi.numbered_sgpr, 4
	.set _Z20BlockPrefixSumKernelILi256ELi4ELN6hipcub16HIPCUB_304000_NS18BlockScanAlgorithmE0EEvPKiPi.num_named_barrier, 0
	.set _Z20BlockPrefixSumKernelILi256ELi4ELN6hipcub16HIPCUB_304000_NS18BlockScanAlgorithmE0EEvPKiPi.private_seg_size, 0
	.set _Z20BlockPrefixSumKernelILi256ELi4ELN6hipcub16HIPCUB_304000_NS18BlockScanAlgorithmE0EEvPKiPi.uses_vcc, 1
	.set _Z20BlockPrefixSumKernelILi256ELi4ELN6hipcub16HIPCUB_304000_NS18BlockScanAlgorithmE0EEvPKiPi.uses_flat_scratch, 0
	.set _Z20BlockPrefixSumKernelILi256ELi4ELN6hipcub16HIPCUB_304000_NS18BlockScanAlgorithmE0EEvPKiPi.has_dyn_sized_stack, 0
	.set _Z20BlockPrefixSumKernelILi256ELi4ELN6hipcub16HIPCUB_304000_NS18BlockScanAlgorithmE0EEvPKiPi.has_recursion, 0
	.set _Z20BlockPrefixSumKernelILi256ELi4ELN6hipcub16HIPCUB_304000_NS18BlockScanAlgorithmE0EEvPKiPi.has_indirect_call, 0
	.section	.AMDGPU.csdata,"",@progbits
; Kernel info:
; codeLenInByte = 1088
; TotalNumSgprs: 6
; NumVgprs: 18
; ScratchSize: 0
; MemoryBound: 0
; FloatMode: 240
; IeeeMode: 1
; LDSByteSize: 4224 bytes/workgroup (compile time only)
; SGPRBlocks: 0
; VGPRBlocks: 2
; NumSGPRsForWavesPerEU: 6
; NumVGPRsForWavesPerEU: 18
; Occupancy: 16
; WaveLimiterHint : 1
; COMPUTE_PGM_RSRC2:SCRATCH_EN: 0
; COMPUTE_PGM_RSRC2:USER_SGPR: 2
; COMPUTE_PGM_RSRC2:TRAP_HANDLER: 0
; COMPUTE_PGM_RSRC2:TGID_X_EN: 1
; COMPUTE_PGM_RSRC2:TGID_Y_EN: 0
; COMPUTE_PGM_RSRC2:TGID_Z_EN: 0
; COMPUTE_PGM_RSRC2:TIDIG_COMP_CNT: 0
	.section	.text._Z20BlockPrefixSumKernelILi128ELi8ELN6hipcub16HIPCUB_304000_NS18BlockScanAlgorithmE0EEvPKiPi,"axG",@progbits,_Z20BlockPrefixSumKernelILi128ELi8ELN6hipcub16HIPCUB_304000_NS18BlockScanAlgorithmE0EEvPKiPi,comdat
	.protected	_Z20BlockPrefixSumKernelILi128ELi8ELN6hipcub16HIPCUB_304000_NS18BlockScanAlgorithmE0EEvPKiPi ; -- Begin function _Z20BlockPrefixSumKernelILi128ELi8ELN6hipcub16HIPCUB_304000_NS18BlockScanAlgorithmE0EEvPKiPi
	.globl	_Z20BlockPrefixSumKernelILi128ELi8ELN6hipcub16HIPCUB_304000_NS18BlockScanAlgorithmE0EEvPKiPi
	.p2align	8
	.type	_Z20BlockPrefixSumKernelILi128ELi8ELN6hipcub16HIPCUB_304000_NS18BlockScanAlgorithmE0EEvPKiPi,@function
_Z20BlockPrefixSumKernelILi128ELi8ELN6hipcub16HIPCUB_304000_NS18BlockScanAlgorithmE0EEvPKiPi: ; @_Z20BlockPrefixSumKernelILi128ELi8ELN6hipcub16HIPCUB_304000_NS18BlockScanAlgorithmE0EEvPKiPi
; %bb.0:
	s_load_b128 s[0:3], s[0:1], 0x0
	v_lshlrev_b32_e32 v1, 3, v0
	v_mbcnt_lo_u32_b32 v11, -1, 0
	v_and_b32_e32 v23, 0x3e0, v0
	s_delay_alu instid0(VALU_DEP_3) | instskip(NEXT) | instid1(VALU_DEP_3)
	v_and_b32_e32 v3, 0x1f00, v1
	v_lshlrev_b32_e32 v9, 2, v11
	s_delay_alu instid0(VALU_DEP_2)
	v_lshlrev_b32_e32 v10, 2, v3
	v_or_b32_e32 v12, v11, v3
	v_or_b32_e32 v14, 32, v3
	;; [unrolled: 1-line block ×5, first 2 shown]
	v_lshrrev_b32_e32 v13, 3, v3
	v_or_b32_e32 v18, 0xa0, v3
	v_or_b32_e32 v19, 0xc0, v3
	s_wait_kmcnt 0x0
	v_add_co_u32 v1, s0, s0, v9
	s_wait_alu 0xf1ff
	v_add_co_ci_u32_e64 v2, null, s1, 0, s0
	v_or_b32_e32 v3, 0xe0, v3
	s_delay_alu instid0(VALU_DEP_3) | instskip(NEXT) | instid1(VALU_DEP_1)
	v_add_co_u32 v1, vcc_lo, v1, v10
	v_add_co_ci_u32_e64 v2, null, 0, v2, vcc_lo
	v_lshlrev_b32_e32 v24, 2, v12
	v_lshrrev_b32_e32 v14, 3, v14
	v_lshrrev_b32_e32 v15, 3, v15
	s_clause 0x7
	global_load_b32 v4, v[1:2], off
	global_load_b32 v5, v[1:2], off offset:128
	global_load_b32 v6, v[1:2], off offset:256
	;; [unrolled: 1-line block ×7, first 2 shown]
	v_or_b32_e32 v2, v11, v23
	v_lshrrev_b32_e32 v16, 3, v16
	v_lshrrev_b32_e32 v17, 3, v17
	;; [unrolled: 1-line block ×4, first 2 shown]
	v_lshlrev_b32_e32 v20, 3, v2
	v_bfe_u32 v2, v2, 2, 27
	v_lshrrev_b32_e32 v3, 3, v3
	v_add_nc_u32_e32 v12, v13, v24
	v_add_nc_u32_e32 v13, v14, v24
	;; [unrolled: 1-line block ×3, first 2 shown]
	v_add_lshl_u32 v20, v2, v20, 2
	v_add_nc_u32_e32 v15, v16, v24
	v_add_nc_u32_e32 v16, v17, v24
	;; [unrolled: 1-line block ×5, first 2 shown]
	v_min_u32_e32 v23, 0x60, v23
	s_mov_b32 s0, exec_lo
	s_wait_loadcnt 0x7
	ds_store_b32 v12, v4
	s_wait_loadcnt 0x6
	ds_store_b32 v13, v5 offset:128
	s_wait_loadcnt 0x5
	ds_store_b32 v14, v6 offset:256
	;; [unrolled: 2-line block ×7, first 2 shown]
	; wave barrier
	ds_load_2addr_b32 v[7:8], v20 offset1:1
	ds_load_2addr_b32 v[5:6], v20 offset0:2 offset1:3
	ds_load_2addr_b32 v[3:4], v20 offset0:4 offset1:5
	;; [unrolled: 1-line block ×3, first 2 shown]
	v_or_b32_e32 v23, 31, v23
	s_wait_dscnt 0x0
	s_barrier_signal -1
	s_barrier_wait -1
	global_inv scope:SCOPE_SE
	v_add_nc_u32_e32 v21, v8, v7
	s_delay_alu instid0(VALU_DEP_1) | instskip(NEXT) | instid1(VALU_DEP_1)
	v_add3_u32 v21, v21, v5, v6
	v_add3_u32 v21, v21, v3, v4
	s_delay_alu instid0(VALU_DEP_1) | instskip(SKIP_1) | instid1(VALU_DEP_2)
	v_add3_u32 v2, v21, v1, v2
	v_and_b32_e32 v21, 15, v11
	v_mov_b32_dpp v22, v2 row_shr:1 row_mask:0xf bank_mask:0xf
	s_delay_alu instid0(VALU_DEP_2) | instskip(SKIP_1) | instid1(VALU_DEP_2)
	v_cmp_ne_u32_e32 vcc_lo, 0, v21
	s_wait_alu 0xfffd
	v_cndmask_b32_e32 v22, 0, v22, vcc_lo
	v_cmp_lt_u32_e32 vcc_lo, 1, v21
	s_delay_alu instid0(VALU_DEP_2) | instskip(NEXT) | instid1(VALU_DEP_1)
	v_add_nc_u32_e32 v2, v22, v2
	v_mov_b32_dpp v22, v2 row_shr:2 row_mask:0xf bank_mask:0xf
	s_wait_alu 0xfffd
	s_delay_alu instid0(VALU_DEP_1) | instskip(SKIP_1) | instid1(VALU_DEP_2)
	v_cndmask_b32_e32 v22, 0, v22, vcc_lo
	v_cmp_lt_u32_e32 vcc_lo, 3, v21
	v_add_nc_u32_e32 v2, v2, v22
	s_delay_alu instid0(VALU_DEP_1) | instskip(SKIP_1) | instid1(VALU_DEP_1)
	v_mov_b32_dpp v22, v2 row_shr:4 row_mask:0xf bank_mask:0xf
	s_wait_alu 0xfffd
	v_cndmask_b32_e32 v22, 0, v22, vcc_lo
	v_cmp_lt_u32_e32 vcc_lo, 7, v21
	s_delay_alu instid0(VALU_DEP_2) | instskip(NEXT) | instid1(VALU_DEP_1)
	v_add_nc_u32_e32 v2, v2, v22
	v_mov_b32_dpp v22, v2 row_shr:8 row_mask:0xf bank_mask:0xf
	s_wait_alu 0xfffd
	s_delay_alu instid0(VALU_DEP_1) | instskip(SKIP_1) | instid1(VALU_DEP_2)
	v_cndmask_b32_e32 v21, 0, v22, vcc_lo
	v_bfe_i32 v22, v11, 4, 1
	v_add_nc_u32_e32 v2, v2, v21
	ds_swizzle_b32 v21, v2 offset:swizzle(BROADCAST,32,15)
	s_wait_dscnt 0x0
	v_and_b32_e32 v22, v22, v21
	v_lshrrev_b32_e32 v21, 5, v0
	s_delay_alu instid0(VALU_DEP_2)
	v_add_nc_u32_e32 v2, v2, v22
	v_cmpx_eq_u32_e64 v0, v23
; %bb.1:
	s_delay_alu instid0(VALU_DEP_3)
	v_lshlrev_b32_e32 v22, 2, v21
	ds_store_b32 v22, v2
; %bb.2:
	s_wait_alu 0xfffe
	s_or_b32 exec_lo, exec_lo, s0
	s_delay_alu instid0(SALU_CYCLE_1)
	s_mov_b32 s0, exec_lo
	s_wait_loadcnt_dscnt 0x0
	s_barrier_signal -1
	s_barrier_wait -1
	global_inv scope:SCOPE_SE
	v_cmpx_gt_u32_e32 4, v0
	s_cbranch_execz .LBB8_4
; %bb.3:
	v_and_b32_e32 v24, 3, v11
	s_delay_alu instid0(VALU_DEP_1)
	v_cmp_ne_u32_e32 vcc_lo, 0, v24
	v_lshlrev_b32_e32 v22, 2, v0
	ds_load_b32 v23, v22
	s_wait_dscnt 0x0
	v_mov_b32_dpp v25, v23 row_shr:1 row_mask:0xf bank_mask:0xf
	s_wait_alu 0xfffd
	s_delay_alu instid0(VALU_DEP_1) | instskip(SKIP_1) | instid1(VALU_DEP_2)
	v_cndmask_b32_e32 v25, 0, v25, vcc_lo
	v_cmp_lt_u32_e32 vcc_lo, 1, v24
	v_add_nc_u32_e32 v23, v25, v23
	s_delay_alu instid0(VALU_DEP_1) | instskip(SKIP_1) | instid1(VALU_DEP_1)
	v_mov_b32_dpp v25, v23 row_shr:2 row_mask:0xf bank_mask:0xf
	s_wait_alu 0xfffd
	v_cndmask_b32_e32 v24, 0, v25, vcc_lo
	s_delay_alu instid0(VALU_DEP_1)
	v_add_nc_u32_e32 v23, v23, v24
	ds_store_b32 v22, v23
.LBB8_4:
	s_wait_alu 0xfffe
	s_or_b32 exec_lo, exec_lo, s0
	v_dual_mov_b32 v22, 0 :: v_dual_mov_b32 v23, 0
	s_mov_b32 s0, exec_lo
	s_wait_loadcnt_dscnt 0x0
	s_barrier_signal -1
	s_barrier_wait -1
	global_inv scope:SCOPE_SE
	v_cmpx_lt_u32_e32 31, v0
; %bb.5:
	v_lshl_add_u32 v21, v21, 2, -4
	ds_load_b32 v23, v21
; %bb.6:
	s_wait_alu 0xfffe
	s_or_b32 exec_lo, exec_lo, s0
	v_sub_co_u32 v21, vcc_lo, v11, 1
	s_wait_dscnt 0x0
	v_add_nc_u32_e32 v2, v23, v2
	s_delay_alu instid0(VALU_DEP_2) | instskip(SKIP_1) | instid1(VALU_DEP_1)
	v_cmp_gt_i32_e64 s0, 0, v21
	s_wait_alu 0xf1ff
	v_cndmask_b32_e64 v11, v21, v11, s0
	s_delay_alu instid0(VALU_DEP_1)
	v_lshlrev_b32_e32 v11, 2, v11
	ds_bpermute_b32 v2, v11, v2
	s_wait_dscnt 0x0
	s_wait_alu 0xfffd
	v_cndmask_b32_e32 v2, v2, v23, vcc_lo
	v_cmp_eq_u32_e32 vcc_lo, 0, v0
	ds_load_b32 v0, v22 offset:12
	s_wait_loadcnt_dscnt 0x0
	s_barrier_signal -1
	s_barrier_wait -1
	s_wait_alu 0xfffd
	v_cndmask_b32_e64 v2, v2, 0, vcc_lo
	global_inv scope:SCOPE_SE
	v_add_nc_u32_e32 v7, v2, v7
	s_delay_alu instid0(VALU_DEP_1) | instskip(NEXT) | instid1(VALU_DEP_1)
	v_add_nc_u32_e32 v8, v7, v8
	v_add_nc_u32_e32 v5, v8, v5
	s_delay_alu instid0(VALU_DEP_1) | instskip(NEXT) | instid1(VALU_DEP_1)
	v_add_nc_u32_e32 v6, v5, v6
	;; [unrolled: 3-line block ×3, first 2 shown]
	v_add_nc_u32_e32 v1, v4, v1
	ds_store_2addr_b32 v20, v2, v7 offset1:1
	ds_store_2addr_b32 v20, v8, v5 offset0:2 offset1:3
	ds_store_2addr_b32 v20, v6, v3 offset0:4 offset1:5
	ds_store_2addr_b32 v20, v4, v1 offset0:6 offset1:7
	; wave barrier
	ds_load_b32 v3, v12
	ds_load_b32 v4, v13 offset:128
	ds_load_b32 v5, v14 offset:256
	;; [unrolled: 1-line block ×7, first 2 shown]
	v_add_co_u32 v1, s0, s2, v9
	s_wait_alu 0xf1ff
	v_add_co_ci_u32_e64 v2, null, s3, 0, s0
	s_delay_alu instid0(VALU_DEP_2) | instskip(SKIP_1) | instid1(VALU_DEP_2)
	v_add_co_u32 v1, s0, v1, v10
	s_wait_alu 0xf1ff
	v_add_co_ci_u32_e64 v2, null, 0, v2, s0
	s_wait_dscnt 0x7
	global_store_b32 v[1:2], v3, off
	s_wait_dscnt 0x6
	global_store_b32 v[1:2], v4, off offset:128
	s_wait_dscnt 0x5
	global_store_b32 v[1:2], v5, off offset:256
	;; [unrolled: 2-line block ×7, first 2 shown]
	s_and_saveexec_b32 s0, vcc_lo
	s_cbranch_execz .LBB8_8
; %bb.7:
	v_mov_b32_e32 v1, 0
	global_store_b32 v1, v0, s[2:3] offset:4096
.LBB8_8:
	s_endpgm
	.section	.rodata,"a",@progbits
	.p2align	6, 0x0
	.amdhsa_kernel _Z20BlockPrefixSumKernelILi128ELi8ELN6hipcub16HIPCUB_304000_NS18BlockScanAlgorithmE0EEvPKiPi
		.amdhsa_group_segment_fixed_size 4224
		.amdhsa_private_segment_fixed_size 0
		.amdhsa_kernarg_size 16
		.amdhsa_user_sgpr_count 2
		.amdhsa_user_sgpr_dispatch_ptr 0
		.amdhsa_user_sgpr_queue_ptr 0
		.amdhsa_user_sgpr_kernarg_segment_ptr 1
		.amdhsa_user_sgpr_dispatch_id 0
		.amdhsa_user_sgpr_private_segment_size 0
		.amdhsa_wavefront_size32 1
		.amdhsa_uses_dynamic_stack 0
		.amdhsa_enable_private_segment 0
		.amdhsa_system_sgpr_workgroup_id_x 1
		.amdhsa_system_sgpr_workgroup_id_y 0
		.amdhsa_system_sgpr_workgroup_id_z 0
		.amdhsa_system_sgpr_workgroup_info 0
		.amdhsa_system_vgpr_workitem_id 0
		.amdhsa_next_free_vgpr 26
		.amdhsa_next_free_sgpr 4
		.amdhsa_reserve_vcc 1
		.amdhsa_float_round_mode_32 0
		.amdhsa_float_round_mode_16_64 0
		.amdhsa_float_denorm_mode_32 3
		.amdhsa_float_denorm_mode_16_64 3
		.amdhsa_fp16_overflow 0
		.amdhsa_workgroup_processor_mode 1
		.amdhsa_memory_ordered 1
		.amdhsa_forward_progress 1
		.amdhsa_inst_pref_size 11
		.amdhsa_round_robin_scheduling 0
		.amdhsa_exception_fp_ieee_invalid_op 0
		.amdhsa_exception_fp_denorm_src 0
		.amdhsa_exception_fp_ieee_div_zero 0
		.amdhsa_exception_fp_ieee_overflow 0
		.amdhsa_exception_fp_ieee_underflow 0
		.amdhsa_exception_fp_ieee_inexact 0
		.amdhsa_exception_int_div_zero 0
	.end_amdhsa_kernel
	.section	.text._Z20BlockPrefixSumKernelILi128ELi8ELN6hipcub16HIPCUB_304000_NS18BlockScanAlgorithmE0EEvPKiPi,"axG",@progbits,_Z20BlockPrefixSumKernelILi128ELi8ELN6hipcub16HIPCUB_304000_NS18BlockScanAlgorithmE0EEvPKiPi,comdat
.Lfunc_end8:
	.size	_Z20BlockPrefixSumKernelILi128ELi8ELN6hipcub16HIPCUB_304000_NS18BlockScanAlgorithmE0EEvPKiPi, .Lfunc_end8-_Z20BlockPrefixSumKernelILi128ELi8ELN6hipcub16HIPCUB_304000_NS18BlockScanAlgorithmE0EEvPKiPi
                                        ; -- End function
	.set _Z20BlockPrefixSumKernelILi128ELi8ELN6hipcub16HIPCUB_304000_NS18BlockScanAlgorithmE0EEvPKiPi.num_vgpr, 26
	.set _Z20BlockPrefixSumKernelILi128ELi8ELN6hipcub16HIPCUB_304000_NS18BlockScanAlgorithmE0EEvPKiPi.num_agpr, 0
	.set _Z20BlockPrefixSumKernelILi128ELi8ELN6hipcub16HIPCUB_304000_NS18BlockScanAlgorithmE0EEvPKiPi.numbered_sgpr, 4
	.set _Z20BlockPrefixSumKernelILi128ELi8ELN6hipcub16HIPCUB_304000_NS18BlockScanAlgorithmE0EEvPKiPi.num_named_barrier, 0
	.set _Z20BlockPrefixSumKernelILi128ELi8ELN6hipcub16HIPCUB_304000_NS18BlockScanAlgorithmE0EEvPKiPi.private_seg_size, 0
	.set _Z20BlockPrefixSumKernelILi128ELi8ELN6hipcub16HIPCUB_304000_NS18BlockScanAlgorithmE0EEvPKiPi.uses_vcc, 1
	.set _Z20BlockPrefixSumKernelILi128ELi8ELN6hipcub16HIPCUB_304000_NS18BlockScanAlgorithmE0EEvPKiPi.uses_flat_scratch, 0
	.set _Z20BlockPrefixSumKernelILi128ELi8ELN6hipcub16HIPCUB_304000_NS18BlockScanAlgorithmE0EEvPKiPi.has_dyn_sized_stack, 0
	.set _Z20BlockPrefixSumKernelILi128ELi8ELN6hipcub16HIPCUB_304000_NS18BlockScanAlgorithmE0EEvPKiPi.has_recursion, 0
	.set _Z20BlockPrefixSumKernelILi128ELi8ELN6hipcub16HIPCUB_304000_NS18BlockScanAlgorithmE0EEvPKiPi.has_indirect_call, 0
	.section	.AMDGPU.csdata,"",@progbits
; Kernel info:
; codeLenInByte = 1392
; TotalNumSgprs: 6
; NumVgprs: 26
; ScratchSize: 0
; MemoryBound: 0
; FloatMode: 240
; IeeeMode: 1
; LDSByteSize: 4224 bytes/workgroup (compile time only)
; SGPRBlocks: 0
; VGPRBlocks: 3
; NumSGPRsForWavesPerEU: 6
; NumVGPRsForWavesPerEU: 26
; Occupancy: 16
; WaveLimiterHint : 1
; COMPUTE_PGM_RSRC2:SCRATCH_EN: 0
; COMPUTE_PGM_RSRC2:USER_SGPR: 2
; COMPUTE_PGM_RSRC2:TRAP_HANDLER: 0
; COMPUTE_PGM_RSRC2:TGID_X_EN: 1
; COMPUTE_PGM_RSRC2:TGID_Y_EN: 0
; COMPUTE_PGM_RSRC2:TGID_Z_EN: 0
; COMPUTE_PGM_RSRC2:TIDIG_COMP_CNT: 0
	.section	.text._Z20BlockPrefixSumKernelILi64ELi16ELN6hipcub16HIPCUB_304000_NS18BlockScanAlgorithmE0EEvPKiPi,"axG",@progbits,_Z20BlockPrefixSumKernelILi64ELi16ELN6hipcub16HIPCUB_304000_NS18BlockScanAlgorithmE0EEvPKiPi,comdat
	.protected	_Z20BlockPrefixSumKernelILi64ELi16ELN6hipcub16HIPCUB_304000_NS18BlockScanAlgorithmE0EEvPKiPi ; -- Begin function _Z20BlockPrefixSumKernelILi64ELi16ELN6hipcub16HIPCUB_304000_NS18BlockScanAlgorithmE0EEvPKiPi
	.globl	_Z20BlockPrefixSumKernelILi64ELi16ELN6hipcub16HIPCUB_304000_NS18BlockScanAlgorithmE0EEvPKiPi
	.p2align	8
	.type	_Z20BlockPrefixSumKernelILi64ELi16ELN6hipcub16HIPCUB_304000_NS18BlockScanAlgorithmE0EEvPKiPi,@function
_Z20BlockPrefixSumKernelILi64ELi16ELN6hipcub16HIPCUB_304000_NS18BlockScanAlgorithmE0EEvPKiPi: ; @_Z20BlockPrefixSumKernelILi64ELi16ELN6hipcub16HIPCUB_304000_NS18BlockScanAlgorithmE0EEvPKiPi
; %bb.0:
	s_load_b128 s[0:3], s[0:1], 0x0
	v_lshlrev_b32_e32 v1, 4, v0
	v_mbcnt_lo_u32_b32 v19, -1, 0
	v_and_b32_e32 v39, 0x3e0, v0
	s_delay_alu instid0(VALU_DEP_3) | instskip(NEXT) | instid1(VALU_DEP_3)
	v_and_b32_e32 v3, 0x3e00, v1
	v_lshlrev_b32_e32 v18, 2, v19
	s_delay_alu instid0(VALU_DEP_2)
	v_lshlrev_b32_e32 v17, 2, v3
	v_or_b32_e32 v20, v19, v3
	v_or_b32_e32 v22, 32, v3
	v_or_b32_e32 v23, 64, v3
	v_or_b32_e32 v24, 0x60, v3
	v_or_b32_e32 v25, 0x80, v3
	v_lshrrev_b32_e32 v21, 3, v3
	v_or_b32_e32 v26, 0xa0, v3
	v_or_b32_e32 v27, 0xc0, v3
	s_wait_kmcnt 0x0
	v_add_co_u32 v1, s0, s0, v18
	s_wait_alu 0xf1ff
	v_add_co_ci_u32_e64 v2, null, s1, 0, s0
	v_or_b32_e32 v28, 0xe0, v3
	s_delay_alu instid0(VALU_DEP_3) | instskip(NEXT) | instid1(VALU_DEP_1)
	v_add_co_u32 v1, vcc_lo, v1, v17
	v_add_co_ci_u32_e64 v2, null, 0, v2, vcc_lo
	v_or_b32_e32 v29, 0x100, v3
	v_or_b32_e32 v30, 0x120, v3
	;; [unrolled: 1-line block ×3, first 2 shown]
	s_clause 0xf
	global_load_b32 v4, v[1:2], off
	global_load_b32 v5, v[1:2], off offset:128
	global_load_b32 v6, v[1:2], off offset:256
	;; [unrolled: 1-line block ×15, first 2 shown]
	v_or_b32_e32 v2, v19, v39
	v_or_b32_e32 v32, 0x160, v3
	;; [unrolled: 1-line block ×6, first 2 shown]
	v_lshlrev_b32_e32 v36, 4, v2
	v_bfe_u32 v2, v2, 1, 27
	v_lshlrev_b32_e32 v40, 2, v20
	v_lshrrev_b32_e32 v22, 3, v22
	v_lshrrev_b32_e32 v23, 3, v23
	;; [unrolled: 1-line block ×15, first 2 shown]
	v_add_lshl_u32 v36, v2, v36, 2
	v_add_nc_u32_e32 v20, v21, v40
	v_add_nc_u32_e32 v21, v22, v40
	;; [unrolled: 1-line block ×16, first 2 shown]
	v_min_u32_e32 v39, 32, v39
	s_mov_b32 s0, exec_lo
	s_wait_loadcnt 0xf
	ds_store_b32 v20, v4
	s_wait_loadcnt 0xe
	ds_store_b32 v21, v5 offset:128
	s_wait_loadcnt 0xd
	ds_store_b32 v22, v6 offset:256
	;; [unrolled: 2-line block ×15, first 2 shown]
	; wave barrier
	ds_load_2addr_b32 v[11:12], v36 offset1:1
	ds_load_2addr_b32 v[9:10], v36 offset0:2 offset1:3
	ds_load_2addr_b32 v[7:8], v36 offset0:4 offset1:5
	;; [unrolled: 1-line block ×5, first 2 shown]
	v_or_b32_e32 v39, 31, v39
	s_wait_dscnt 0x5
	v_add_nc_u32_e32 v1, v12, v11
	s_wait_dscnt 0x4
	s_delay_alu instid0(VALU_DEP_1) | instskip(SKIP_1) | instid1(VALU_DEP_1)
	v_add3_u32 v1, v1, v9, v10
	s_wait_dscnt 0x3
	v_add3_u32 v37, v1, v7, v8
	ds_load_2addr_b32 v[5:6], v36 offset0:12 offset1:13
	ds_load_2addr_b32 v[1:2], v36 offset0:14 offset1:15
	s_wait_dscnt 0x0
	s_barrier_signal -1
	s_barrier_wait -1
	v_add3_u32 v37, v37, v3, v4
	global_inv scope:SCOPE_SE
	v_add3_u32 v37, v37, v13, v14
	s_delay_alu instid0(VALU_DEP_1) | instskip(NEXT) | instid1(VALU_DEP_1)
	v_add3_u32 v37, v37, v15, v16
	v_add3_u32 v37, v37, v5, v6
	s_delay_alu instid0(VALU_DEP_1) | instskip(SKIP_1) | instid1(VALU_DEP_2)
	v_add3_u32 v2, v37, v1, v2
	v_and_b32_e32 v37, 15, v19
	v_mov_b32_dpp v38, v2 row_shr:1 row_mask:0xf bank_mask:0xf
	s_delay_alu instid0(VALU_DEP_2) | instskip(SKIP_1) | instid1(VALU_DEP_2)
	v_cmp_ne_u32_e32 vcc_lo, 0, v37
	s_wait_alu 0xfffd
	v_cndmask_b32_e32 v38, 0, v38, vcc_lo
	v_cmp_lt_u32_e32 vcc_lo, 1, v37
	s_delay_alu instid0(VALU_DEP_2) | instskip(NEXT) | instid1(VALU_DEP_1)
	v_add_nc_u32_e32 v2, v38, v2
	v_mov_b32_dpp v38, v2 row_shr:2 row_mask:0xf bank_mask:0xf
	s_wait_alu 0xfffd
	s_delay_alu instid0(VALU_DEP_1) | instskip(SKIP_1) | instid1(VALU_DEP_2)
	v_cndmask_b32_e32 v38, 0, v38, vcc_lo
	v_cmp_lt_u32_e32 vcc_lo, 3, v37
	v_add_nc_u32_e32 v2, v2, v38
	s_delay_alu instid0(VALU_DEP_1) | instskip(SKIP_1) | instid1(VALU_DEP_1)
	v_mov_b32_dpp v38, v2 row_shr:4 row_mask:0xf bank_mask:0xf
	s_wait_alu 0xfffd
	v_cndmask_b32_e32 v38, 0, v38, vcc_lo
	v_cmp_lt_u32_e32 vcc_lo, 7, v37
	s_delay_alu instid0(VALU_DEP_2) | instskip(NEXT) | instid1(VALU_DEP_1)
	v_add_nc_u32_e32 v2, v2, v38
	v_mov_b32_dpp v38, v2 row_shr:8 row_mask:0xf bank_mask:0xf
	s_wait_alu 0xfffd
	s_delay_alu instid0(VALU_DEP_1) | instskip(SKIP_1) | instid1(VALU_DEP_2)
	v_cndmask_b32_e32 v37, 0, v38, vcc_lo
	v_bfe_i32 v38, v19, 4, 1
	v_add_nc_u32_e32 v2, v2, v37
	ds_swizzle_b32 v37, v2 offset:swizzle(BROADCAST,32,15)
	s_wait_dscnt 0x0
	v_and_b32_e32 v38, v38, v37
	v_lshrrev_b32_e32 v37, 5, v0
	s_delay_alu instid0(VALU_DEP_2)
	v_add_nc_u32_e32 v2, v2, v38
	v_cmpx_eq_u32_e64 v0, v39
; %bb.1:
	s_delay_alu instid0(VALU_DEP_3)
	v_lshlrev_b32_e32 v38, 2, v37
	ds_store_b32 v38, v2
; %bb.2:
	s_wait_alu 0xfffe
	s_or_b32 exec_lo, exec_lo, s0
	s_delay_alu instid0(SALU_CYCLE_1)
	s_mov_b32 s0, exec_lo
	s_wait_loadcnt_dscnt 0x0
	s_barrier_signal -1
	s_barrier_wait -1
	global_inv scope:SCOPE_SE
	v_cmpx_gt_u32_e32 2, v0
	s_cbranch_execz .LBB9_4
; %bb.3:
	v_lshlrev_b32_e32 v38, 2, v0
	v_bfe_i32 v40, v19, 0, 1
	ds_load_b32 v39, v38
	s_wait_dscnt 0x0
	v_mov_b32_dpp v41, v39 row_shr:1 row_mask:0xf bank_mask:0xf
	s_delay_alu instid0(VALU_DEP_1) | instskip(NEXT) | instid1(VALU_DEP_1)
	v_and_b32_e32 v40, v40, v41
	v_add_nc_u32_e32 v39, v40, v39
	ds_store_b32 v38, v39
.LBB9_4:
	s_wait_alu 0xfffe
	s_or_b32 exec_lo, exec_lo, s0
	v_dual_mov_b32 v38, 0 :: v_dual_mov_b32 v39, 0
	s_mov_b32 s0, exec_lo
	s_wait_loadcnt_dscnt 0x0
	s_barrier_signal -1
	s_barrier_wait -1
	global_inv scope:SCOPE_SE
	v_cmpx_lt_u32_e32 31, v0
; %bb.5:
	v_lshl_add_u32 v37, v37, 2, -4
	ds_load_b32 v39, v37
; %bb.6:
	s_wait_alu 0xfffe
	s_or_b32 exec_lo, exec_lo, s0
	v_sub_co_u32 v37, vcc_lo, v19, 1
	s_wait_dscnt 0x0
	v_add_nc_u32_e32 v2, v39, v2
	s_delay_alu instid0(VALU_DEP_2) | instskip(SKIP_1) | instid1(VALU_DEP_1)
	v_cmp_gt_i32_e64 s0, 0, v37
	s_wait_alu 0xf1ff
	v_cndmask_b32_e64 v19, v37, v19, s0
	v_add_co_u32 v18, s0, s2, v18
	s_delay_alu instid0(VALU_DEP_2)
	v_lshlrev_b32_e32 v19, 2, v19
	ds_bpermute_b32 v2, v19, v2
	s_wait_alu 0xf1ff
	v_add_co_ci_u32_e64 v19, null, s3, 0, s0
	s_wait_dscnt 0x0
	s_wait_alu 0xfffd
	v_cndmask_b32_e32 v2, v2, v39, vcc_lo
	v_cmp_eq_u32_e32 vcc_lo, 0, v0
	ds_load_b32 v0, v38 offset:4
	s_wait_loadcnt_dscnt 0x0
	s_barrier_signal -1
	s_barrier_wait -1
	s_wait_alu 0xfffd
	v_cndmask_b32_e64 v2, v2, 0, vcc_lo
	global_inv scope:SCOPE_SE
	v_add_nc_u32_e32 v11, v2, v11
	s_delay_alu instid0(VALU_DEP_1) | instskip(NEXT) | instid1(VALU_DEP_1)
	v_add_nc_u32_e32 v12, v11, v12
	v_add_nc_u32_e32 v9, v12, v9
	s_delay_alu instid0(VALU_DEP_1) | instskip(NEXT) | instid1(VALU_DEP_1)
	v_add_nc_u32_e32 v10, v9, v10
	;; [unrolled: 3-line block ×7, first 2 shown]
	v_add_nc_u32_e32 v1, v6, v1
	ds_store_2addr_b32 v36, v2, v11 offset1:1
	ds_store_2addr_b32 v36, v12, v9 offset0:2 offset1:3
	ds_store_2addr_b32 v36, v10, v7 offset0:4 offset1:5
	;; [unrolled: 1-line block ×7, first 2 shown]
	; wave barrier
	ds_load_b32 v3, v20
	ds_load_b32 v4, v21 offset:128
	ds_load_b32 v5, v22 offset:256
	;; [unrolled: 1-line block ×15, first 2 shown]
	v_add_co_u32 v1, s0, v18, v17
	s_wait_alu 0xf1ff
	v_add_co_ci_u32_e64 v2, null, 0, v19, s0
	s_wait_dscnt 0xf
	global_store_b32 v[1:2], v3, off
	s_wait_dscnt 0xe
	global_store_b32 v[1:2], v4, off offset:128
	s_wait_dscnt 0xd
	global_store_b32 v[1:2], v5, off offset:256
	;; [unrolled: 2-line block ×15, first 2 shown]
	s_and_saveexec_b32 s0, vcc_lo
	s_cbranch_execz .LBB9_8
; %bb.7:
	v_mov_b32_e32 v1, 0
	global_store_b32 v1, v0, s[2:3] offset:4096
.LBB9_8:
	s_endpgm
	.section	.rodata,"a",@progbits
	.p2align	6, 0x0
	.amdhsa_kernel _Z20BlockPrefixSumKernelILi64ELi16ELN6hipcub16HIPCUB_304000_NS18BlockScanAlgorithmE0EEvPKiPi
		.amdhsa_group_segment_fixed_size 4224
		.amdhsa_private_segment_fixed_size 0
		.amdhsa_kernarg_size 16
		.amdhsa_user_sgpr_count 2
		.amdhsa_user_sgpr_dispatch_ptr 0
		.amdhsa_user_sgpr_queue_ptr 0
		.amdhsa_user_sgpr_kernarg_segment_ptr 1
		.amdhsa_user_sgpr_dispatch_id 0
		.amdhsa_user_sgpr_private_segment_size 0
		.amdhsa_wavefront_size32 1
		.amdhsa_uses_dynamic_stack 0
		.amdhsa_enable_private_segment 0
		.amdhsa_system_sgpr_workgroup_id_x 1
		.amdhsa_system_sgpr_workgroup_id_y 0
		.amdhsa_system_sgpr_workgroup_id_z 0
		.amdhsa_system_sgpr_workgroup_info 0
		.amdhsa_system_vgpr_workitem_id 0
		.amdhsa_next_free_vgpr 42
		.amdhsa_next_free_sgpr 4
		.amdhsa_reserve_vcc 1
		.amdhsa_float_round_mode_32 0
		.amdhsa_float_round_mode_16_64 0
		.amdhsa_float_denorm_mode_32 3
		.amdhsa_float_denorm_mode_16_64 3
		.amdhsa_fp16_overflow 0
		.amdhsa_workgroup_processor_mode 1
		.amdhsa_memory_ordered 1
		.amdhsa_forward_progress 1
		.amdhsa_inst_pref_size 16
		.amdhsa_round_robin_scheduling 0
		.amdhsa_exception_fp_ieee_invalid_op 0
		.amdhsa_exception_fp_denorm_src 0
		.amdhsa_exception_fp_ieee_div_zero 0
		.amdhsa_exception_fp_ieee_overflow 0
		.amdhsa_exception_fp_ieee_underflow 0
		.amdhsa_exception_fp_ieee_inexact 0
		.amdhsa_exception_int_div_zero 0
	.end_amdhsa_kernel
	.section	.text._Z20BlockPrefixSumKernelILi64ELi16ELN6hipcub16HIPCUB_304000_NS18BlockScanAlgorithmE0EEvPKiPi,"axG",@progbits,_Z20BlockPrefixSumKernelILi64ELi16ELN6hipcub16HIPCUB_304000_NS18BlockScanAlgorithmE0EEvPKiPi,comdat
.Lfunc_end9:
	.size	_Z20BlockPrefixSumKernelILi64ELi16ELN6hipcub16HIPCUB_304000_NS18BlockScanAlgorithmE0EEvPKiPi, .Lfunc_end9-_Z20BlockPrefixSumKernelILi64ELi16ELN6hipcub16HIPCUB_304000_NS18BlockScanAlgorithmE0EEvPKiPi
                                        ; -- End function
	.set _Z20BlockPrefixSumKernelILi64ELi16ELN6hipcub16HIPCUB_304000_NS18BlockScanAlgorithmE0EEvPKiPi.num_vgpr, 42
	.set _Z20BlockPrefixSumKernelILi64ELi16ELN6hipcub16HIPCUB_304000_NS18BlockScanAlgorithmE0EEvPKiPi.num_agpr, 0
	.set _Z20BlockPrefixSumKernelILi64ELi16ELN6hipcub16HIPCUB_304000_NS18BlockScanAlgorithmE0EEvPKiPi.numbered_sgpr, 4
	.set _Z20BlockPrefixSumKernelILi64ELi16ELN6hipcub16HIPCUB_304000_NS18BlockScanAlgorithmE0EEvPKiPi.num_named_barrier, 0
	.set _Z20BlockPrefixSumKernelILi64ELi16ELN6hipcub16HIPCUB_304000_NS18BlockScanAlgorithmE0EEvPKiPi.private_seg_size, 0
	.set _Z20BlockPrefixSumKernelILi64ELi16ELN6hipcub16HIPCUB_304000_NS18BlockScanAlgorithmE0EEvPKiPi.uses_vcc, 1
	.set _Z20BlockPrefixSumKernelILi64ELi16ELN6hipcub16HIPCUB_304000_NS18BlockScanAlgorithmE0EEvPKiPi.uses_flat_scratch, 0
	.set _Z20BlockPrefixSumKernelILi64ELi16ELN6hipcub16HIPCUB_304000_NS18BlockScanAlgorithmE0EEvPKiPi.has_dyn_sized_stack, 0
	.set _Z20BlockPrefixSumKernelILi64ELi16ELN6hipcub16HIPCUB_304000_NS18BlockScanAlgorithmE0EEvPKiPi.has_recursion, 0
	.set _Z20BlockPrefixSumKernelILi64ELi16ELN6hipcub16HIPCUB_304000_NS18BlockScanAlgorithmE0EEvPKiPi.has_indirect_call, 0
	.section	.AMDGPU.csdata,"",@progbits
; Kernel info:
; codeLenInByte = 2016
; TotalNumSgprs: 6
; NumVgprs: 42
; ScratchSize: 0
; MemoryBound: 0
; FloatMode: 240
; IeeeMode: 1
; LDSByteSize: 4224 bytes/workgroup (compile time only)
; SGPRBlocks: 0
; VGPRBlocks: 5
; NumSGPRsForWavesPerEU: 6
; NumVGPRsForWavesPerEU: 42
; Occupancy: 16
; WaveLimiterHint : 1
; COMPUTE_PGM_RSRC2:SCRATCH_EN: 0
; COMPUTE_PGM_RSRC2:USER_SGPR: 2
; COMPUTE_PGM_RSRC2:TRAP_HANDLER: 0
; COMPUTE_PGM_RSRC2:TGID_X_EN: 1
; COMPUTE_PGM_RSRC2:TGID_Y_EN: 0
; COMPUTE_PGM_RSRC2:TGID_Z_EN: 0
; COMPUTE_PGM_RSRC2:TIDIG_COMP_CNT: 0
	.section	.AMDGPU.gpr_maximums,"",@progbits
	.set amdgpu.max_num_vgpr, 0
	.set amdgpu.max_num_agpr, 0
	.set amdgpu.max_num_sgpr, 0
	.section	.AMDGPU.csdata,"",@progbits
	.type	__hip_cuid_1bb8e16f97133b14,@object ; @__hip_cuid_1bb8e16f97133b14
	.section	.bss,"aw",@nobits
	.globl	__hip_cuid_1bb8e16f97133b14
__hip_cuid_1bb8e16f97133b14:
	.byte	0                               ; 0x0
	.size	__hip_cuid_1bb8e16f97133b14, 1

	.ident	"AMD clang version 22.0.0git (https://github.com/RadeonOpenCompute/llvm-project roc-7.2.4 26084 f58b06dce1f9c15707c5f808fd002e18c2accf7e)"
	.section	".note.GNU-stack","",@progbits
	.addrsig
	.addrsig_sym __hip_cuid_1bb8e16f97133b14
	.amdgpu_metadata
---
amdhsa.kernels:
  - .args:
      - .address_space:  global
        .offset:         0
        .size:           8
        .value_kind:     global_buffer
      - .address_space:  global
        .offset:         8
        .size:           8
        .value_kind:     global_buffer
    .group_segment_fixed_size: 4224
    .kernarg_segment_align: 8
    .kernarg_segment_size: 16
    .language:       OpenCL C
    .language_version:
      - 2
      - 0
    .max_flat_workgroup_size: 1024
    .name:           _Z20BlockPrefixSumKernelILi1024ELi1ELN6hipcub16HIPCUB_304000_NS18BlockScanAlgorithmE1EEvPKiPi
    .private_segment_fixed_size: 0
    .sgpr_count:     6
    .sgpr_spill_count: 0
    .symbol:         _Z20BlockPrefixSumKernelILi1024ELi1ELN6hipcub16HIPCUB_304000_NS18BlockScanAlgorithmE1EEvPKiPi.kd
    .uniform_work_group_size: 1
    .uses_dynamic_stack: false
    .vgpr_count:     37
    .vgpr_spill_count: 0
    .wavefront_size: 32
    .workgroup_processor_mode: 1
  - .args:
      - .address_space:  global
        .offset:         0
        .size:           8
        .value_kind:     global_buffer
      - .address_space:  global
        .offset:         8
        .size:           8
        .value_kind:     global_buffer
    .group_segment_fixed_size: 4224
    .kernarg_segment_align: 8
    .kernarg_segment_size: 16
    .language:       OpenCL C
    .language_version:
      - 2
      - 0
    .max_flat_workgroup_size: 1024
    .name:           _Z20BlockPrefixSumKernelILi512ELi2ELN6hipcub16HIPCUB_304000_NS18BlockScanAlgorithmE1EEvPKiPi
    .private_segment_fixed_size: 0
    .sgpr_count:     6
    .sgpr_spill_count: 0
    .symbol:         _Z20BlockPrefixSumKernelILi512ELi2ELN6hipcub16HIPCUB_304000_NS18BlockScanAlgorithmE1EEvPKiPi.kd
    .uniform_work_group_size: 1
    .uses_dynamic_stack: false
    .vgpr_count:     24
    .vgpr_spill_count: 0
    .wavefront_size: 32
    .workgroup_processor_mode: 1
  - .args:
      - .address_space:  global
        .offset:         0
        .size:           8
        .value_kind:     global_buffer
      - .address_space:  global
        .offset:         8
        .size:           8
        .value_kind:     global_buffer
    .group_segment_fixed_size: 4224
    .kernarg_segment_align: 8
    .kernarg_segment_size: 16
    .language:       OpenCL C
    .language_version:
      - 2
      - 0
    .max_flat_workgroup_size: 1024
    .name:           _Z20BlockPrefixSumKernelILi256ELi4ELN6hipcub16HIPCUB_304000_NS18BlockScanAlgorithmE1EEvPKiPi
    .private_segment_fixed_size: 0
    .sgpr_count:     6
    .sgpr_spill_count: 0
    .symbol:         _Z20BlockPrefixSumKernelILi256ELi4ELN6hipcub16HIPCUB_304000_NS18BlockScanAlgorithmE1EEvPKiPi.kd
    .uniform_work_group_size: 1
    .uses_dynamic_stack: false
    .vgpr_count:     23
    .vgpr_spill_count: 0
    .wavefront_size: 32
    .workgroup_processor_mode: 1
  - .args:
      - .address_space:  global
        .offset:         0
        .size:           8
        .value_kind:     global_buffer
      - .address_space:  global
        .offset:         8
        .size:           8
        .value_kind:     global_buffer
    .group_segment_fixed_size: 4224
    .kernarg_segment_align: 8
    .kernarg_segment_size: 16
    .language:       OpenCL C
    .language_version:
      - 2
      - 0
    .max_flat_workgroup_size: 1024
    .name:           _Z20BlockPrefixSumKernelILi128ELi8ELN6hipcub16HIPCUB_304000_NS18BlockScanAlgorithmE1EEvPKiPi
    .private_segment_fixed_size: 0
    .sgpr_count:     6
    .sgpr_spill_count: 0
    .symbol:         _Z20BlockPrefixSumKernelILi128ELi8ELN6hipcub16HIPCUB_304000_NS18BlockScanAlgorithmE1EEvPKiPi.kd
    .uniform_work_group_size: 1
    .uses_dynamic_stack: false
    .vgpr_count:     28
    .vgpr_spill_count: 0
    .wavefront_size: 32
    .workgroup_processor_mode: 1
  - .args:
      - .address_space:  global
        .offset:         0
        .size:           8
        .value_kind:     global_buffer
      - .address_space:  global
        .offset:         8
        .size:           8
        .value_kind:     global_buffer
    .group_segment_fixed_size: 4224
    .kernarg_segment_align: 8
    .kernarg_segment_size: 16
    .language:       OpenCL C
    .language_version:
      - 2
      - 0
    .max_flat_workgroup_size: 1024
    .name:           _Z20BlockPrefixSumKernelILi64ELi16ELN6hipcub16HIPCUB_304000_NS18BlockScanAlgorithmE1EEvPKiPi
    .private_segment_fixed_size: 0
    .sgpr_count:     6
    .sgpr_spill_count: 0
    .symbol:         _Z20BlockPrefixSumKernelILi64ELi16ELN6hipcub16HIPCUB_304000_NS18BlockScanAlgorithmE1EEvPKiPi.kd
    .uniform_work_group_size: 1
    .uses_dynamic_stack: false
    .vgpr_count:     44
    .vgpr_spill_count: 0
    .wavefront_size: 32
    .workgroup_processor_mode: 1
  - .args:
      - .address_space:  global
        .offset:         0
        .size:           8
        .value_kind:     global_buffer
      - .address_space:  global
        .offset:         8
        .size:           8
        .value_kind:     global_buffer
    .group_segment_fixed_size: 4096
    .kernarg_segment_align: 8
    .kernarg_segment_size: 16
    .language:       OpenCL C
    .language_version:
      - 2
      - 0
    .max_flat_workgroup_size: 1024
    .name:           _Z20BlockPrefixSumKernelILi1024ELi1ELN6hipcub16HIPCUB_304000_NS18BlockScanAlgorithmE0EEvPKiPi
    .private_segment_fixed_size: 0
    .sgpr_count:     11
    .sgpr_spill_count: 0
    .symbol:         _Z20BlockPrefixSumKernelILi1024ELi1ELN6hipcub16HIPCUB_304000_NS18BlockScanAlgorithmE0EEvPKiPi.kd
    .uniform_work_group_size: 1
    .uses_dynamic_stack: false
    .vgpr_count:     10
    .vgpr_spill_count: 0
    .wavefront_size: 32
    .workgroup_processor_mode: 1
  - .args:
      - .address_space:  global
        .offset:         0
        .size:           8
        .value_kind:     global_buffer
      - .address_space:  global
        .offset:         8
        .size:           8
        .value_kind:     global_buffer
    .group_segment_fixed_size: 4224
    .kernarg_segment_align: 8
    .kernarg_segment_size: 16
    .language:       OpenCL C
    .language_version:
      - 2
      - 0
    .max_flat_workgroup_size: 1024
    .name:           _Z20BlockPrefixSumKernelILi512ELi2ELN6hipcub16HIPCUB_304000_NS18BlockScanAlgorithmE0EEvPKiPi
    .private_segment_fixed_size: 0
    .sgpr_count:     10
    .sgpr_spill_count: 0
    .symbol:         _Z20BlockPrefixSumKernelILi512ELi2ELN6hipcub16HIPCUB_304000_NS18BlockScanAlgorithmE0EEvPKiPi.kd
    .uniform_work_group_size: 1
    .uses_dynamic_stack: false
    .vgpr_count:     13
    .vgpr_spill_count: 0
    .wavefront_size: 32
    .workgroup_processor_mode: 1
  - .args:
      - .address_space:  global
        .offset:         0
        .size:           8
        .value_kind:     global_buffer
      - .address_space:  global
        .offset:         8
        .size:           8
        .value_kind:     global_buffer
    .group_segment_fixed_size: 4224
    .kernarg_segment_align: 8
    .kernarg_segment_size: 16
    .language:       OpenCL C
    .language_version:
      - 2
      - 0
    .max_flat_workgroup_size: 1024
    .name:           _Z20BlockPrefixSumKernelILi256ELi4ELN6hipcub16HIPCUB_304000_NS18BlockScanAlgorithmE0EEvPKiPi
    .private_segment_fixed_size: 0
    .sgpr_count:     6
    .sgpr_spill_count: 0
    .symbol:         _Z20BlockPrefixSumKernelILi256ELi4ELN6hipcub16HIPCUB_304000_NS18BlockScanAlgorithmE0EEvPKiPi.kd
    .uniform_work_group_size: 1
    .uses_dynamic_stack: false
    .vgpr_count:     18
    .vgpr_spill_count: 0
    .wavefront_size: 32
    .workgroup_processor_mode: 1
  - .args:
      - .address_space:  global
        .offset:         0
        .size:           8
        .value_kind:     global_buffer
      - .address_space:  global
        .offset:         8
        .size:           8
        .value_kind:     global_buffer
    .group_segment_fixed_size: 4224
    .kernarg_segment_align: 8
    .kernarg_segment_size: 16
    .language:       OpenCL C
    .language_version:
      - 2
      - 0
    .max_flat_workgroup_size: 1024
    .name:           _Z20BlockPrefixSumKernelILi128ELi8ELN6hipcub16HIPCUB_304000_NS18BlockScanAlgorithmE0EEvPKiPi
    .private_segment_fixed_size: 0
    .sgpr_count:     6
    .sgpr_spill_count: 0
    .symbol:         _Z20BlockPrefixSumKernelILi128ELi8ELN6hipcub16HIPCUB_304000_NS18BlockScanAlgorithmE0EEvPKiPi.kd
    .uniform_work_group_size: 1
    .uses_dynamic_stack: false
    .vgpr_count:     26
    .vgpr_spill_count: 0
    .wavefront_size: 32
    .workgroup_processor_mode: 1
  - .args:
      - .address_space:  global
        .offset:         0
        .size:           8
        .value_kind:     global_buffer
      - .address_space:  global
        .offset:         8
        .size:           8
        .value_kind:     global_buffer
    .group_segment_fixed_size: 4224
    .kernarg_segment_align: 8
    .kernarg_segment_size: 16
    .language:       OpenCL C
    .language_version:
      - 2
      - 0
    .max_flat_workgroup_size: 1024
    .name:           _Z20BlockPrefixSumKernelILi64ELi16ELN6hipcub16HIPCUB_304000_NS18BlockScanAlgorithmE0EEvPKiPi
    .private_segment_fixed_size: 0
    .sgpr_count:     6
    .sgpr_spill_count: 0
    .symbol:         _Z20BlockPrefixSumKernelILi64ELi16ELN6hipcub16HIPCUB_304000_NS18BlockScanAlgorithmE0EEvPKiPi.kd
    .uniform_work_group_size: 1
    .uses_dynamic_stack: false
    .vgpr_count:     42
    .vgpr_spill_count: 0
    .wavefront_size: 32
    .workgroup_processor_mode: 1
amdhsa.target:   amdgcn-amd-amdhsa--gfx1201
amdhsa.version:
  - 1
  - 2
...

	.end_amdgpu_metadata
